;; amdgpu-corpus repo=ROCm/rocFFT kind=compiled arch=gfx1030 opt=O3
	.text
	.amdgcn_target "amdgcn-amd-amdhsa--gfx1030"
	.amdhsa_code_object_version 6
	.protected	bluestein_single_fwd_len432_dim1_half_op_CI_CI ; -- Begin function bluestein_single_fwd_len432_dim1_half_op_CI_CI
	.globl	bluestein_single_fwd_len432_dim1_half_op_CI_CI
	.p2align	8
	.type	bluestein_single_fwd_len432_dim1_half_op_CI_CI,@function
bluestein_single_fwd_len432_dim1_half_op_CI_CI: ; @bluestein_single_fwd_len432_dim1_half_op_CI_CI
; %bb.0:
	s_load_dwordx4 s[12:15], s[4:5], 0x28
	v_mul_u32_u24_e32 v1, 0x97c, v0
	v_mov_b32_e32 v18, 0
	s_mov_b32 s0, exec_lo
	v_lshrrev_b32_e32 v2, 16, v1
	v_lshl_add_u32 v17, s6, 1, v2
	s_waitcnt lgkmcnt(0)
	v_cmpx_gt_u64_e64 s[12:13], v[17:18]
	s_cbranch_execz .LBB0_31
; %bb.1:
	s_clause 0x1
	s_load_dwordx4 s[0:3], s[4:5], 0x18
	s_load_dwordx2 s[12:13], s[4:5], 0x0
	v_mul_lo_u16 v1, v2, 27
	v_sub_nc_u16 v10, v0, v1
	v_and_b32_e32 v76, 0xffff, v10
	v_or_b32_e32 v73, 0x120, v76
	v_lshlrev_b32_e32 v88, 2, v76
	s_waitcnt lgkmcnt(0)
	s_load_dwordx4 s[8:11], s[0:1], 0x0
	s_clause 0x1
	global_load_dword v77, v88, s[12:13]
	global_load_dword v75, v88, s[12:13] offset:108
	s_waitcnt lgkmcnt(0)
	v_mad_u64_u32 v[0:1], null, s10, v17, 0
	v_mad_u64_u32 v[3:4], null, s8, v76, 0
	s_mul_i32 s1, s9, 0x90
	s_mul_hi_u32 s6, s8, 0x90
	s_mul_i32 s0, s8, 0x90
	s_add_i32 s1, s6, s1
	v_mad_u64_u32 v[5:6], null, s11, v17, v[1:2]
	v_mad_u64_u32 v[6:7], null, s8, v73, 0
	s_mul_hi_u32 s6, s8, 0xfffffefb
	v_and_b32_e32 v2, 1, v2
	s_sub_i32 s6, s6, s8
	v_mad_u64_u32 v[8:9], null, s9, v76, v[4:5]
	v_mov_b32_e32 v1, v5
	v_mov_b32_e32 v5, v7
	v_lshlrev_b64 v[0:1], 2, v[0:1]
	v_mov_b32_e32 v4, v8
	v_mad_u64_u32 v[7:8], null, s9, v73, v[5:6]
	v_add_co_u32 v8, vcc_lo, s14, v0
	v_lshlrev_b64 v[3:4], 2, v[3:4]
	v_add_co_ci_u32_e32 v9, vcc_lo, s15, v1, vcc_lo
	s_lshl_b64 s[14:15], s[0:1], 2
	v_lshlrev_b64 v[5:6], 2, v[6:7]
	s_mul_i32 s0, s9, 0xfffffe2c
	v_add_co_u32 v0, vcc_lo, v8, v3
	v_add_co_ci_u32_e32 v1, vcc_lo, v9, v4, vcc_lo
	s_sub_i32 s0, s0, s8
	v_add_co_u32 v3, vcc_lo, v0, s14
	v_add_co_ci_u32_e32 v4, vcc_lo, s15, v1, vcc_lo
	global_load_dword v7, v[0:1], off
	v_add_co_u32 v5, vcc_lo, v8, v5
	v_mad_u64_u32 v[0:1], null, 0xfffffe2c, s8, v[3:4]
	v_add_co_ci_u32_e32 v6, vcc_lo, v9, v6, vcc_lo
	s_clause 0x1
	global_load_dword v79, v88, s[12:13] offset:576
	global_load_dword v74, v88, s[12:13] offset:684
	s_clause 0x1
	global_load_dword v8, v[3:4], off
	global_load_dword v9, v[5:6], off
	s_clause 0x1
	global_load_dword v78, v88, s[12:13] offset:1152
	global_load_dword v72, v88, s[12:13] offset:1260
	v_add_nc_u32_e32 v1, s0, v1
	s_mul_i32 s1, s9, 0xfffffefb
	s_mul_i32 s0, s8, 0xfffffefb
	s_add_i32 s1, s6, s1
	s_load_dwordx2 s[6:7], s[4:5], 0x38
	global_load_dword v11, v[0:1], off
	v_add_co_u32 v0, vcc_lo, v0, s14
	v_add_co_ci_u32_e32 v1, vcc_lo, s15, v1, vcc_lo
	s_lshl_b64 s[0:1], s[0:1], 2
	v_add_co_u32 v3, vcc_lo, v0, s14
	v_add_co_ci_u32_e32 v4, vcc_lo, s15, v1, vcc_lo
	global_load_dword v12, v[0:1], off
	global_load_dword v71, v88, s[12:13] offset:216
	v_add_co_u32 v0, vcc_lo, v3, s0
	v_add_co_ci_u32_e32 v1, vcc_lo, s1, v4, vcc_lo
	global_load_dword v13, v[3:4], off
	v_add_co_u32 v3, vcc_lo, v0, s14
	v_add_co_ci_u32_e32 v4, vcc_lo, s15, v1, vcc_lo
	global_load_dword v14, v[0:1], off
	;; [unrolled: 3-line block ×3, first 2 shown]
	v_add_co_u32 v3, vcc_lo, v0, s0
	v_add_co_ci_u32_e32 v4, vcc_lo, s1, v1, vcc_lo
	s_clause 0x2
	global_load_dword v70, v88, s[12:13] offset:792
	global_load_dword v69, v88, s[12:13] offset:1368
	;; [unrolled: 1-line block ×3, first 2 shown]
	global_load_dword v19, v[0:1], off
	global_load_dword v67, v88, s[12:13] offset:900
	global_load_dword v20, v[3:4], off
	v_add_co_u32 v0, vcc_lo, v3, s14
	v_add_co_ci_u32_e32 v1, vcc_lo, s15, v4, vcc_lo
	global_load_dword v66, v88, s[12:13] offset:1476
	v_add_co_u32 v3, vcc_lo, v0, s14
	v_add_co_ci_u32_e32 v4, vcc_lo, s15, v1, vcc_lo
	global_load_dword v21, v[0:1], off
	v_add_co_u32 v5, vcc_lo, v3, s0
	v_add_co_ci_u32_e32 v6, vcc_lo, s1, v4, vcc_lo
	global_load_dword v22, v[3:4], off
	v_add_co_u32 v3, vcc_lo, v5, s14
	v_add_co_ci_u32_e32 v4, vcc_lo, s15, v6, vcc_lo
	v_add_co_u32 v0, vcc_lo, v3, s14
	v_add_co_ci_u32_e32 v1, vcc_lo, s15, v4, vcc_lo
	global_load_dword v5, v[5:6], off
	global_load_dword v65, v88, s[12:13] offset:432
	global_load_dword v3, v[3:4], off
	global_load_dword v6, v[0:1], off
	s_clause 0x1
	global_load_dword v63, v88, s[12:13] offset:1584
	global_load_dword v64, v88, s[12:13] offset:1008
	v_cmp_eq_u32_e32 vcc_lo, 1, v2
	s_load_dwordx4 s[8:11], s[2:3], 0x0
	v_add_co_u32 v15, s2, s12, v88
	v_add_co_ci_u32_e64 v16, null, s13, 0, s2
	v_cndmask_b32_e64 v94, 0, 0x1b0, vcc_lo
	v_cmp_gt_u16_e32 vcc_lo, 9, v10
	v_lshlrev_b32_e32 v80, 2, v94
	v_add_nc_u32_e32 v62, v80, v88
	v_add_nc_u32_e32 v4, 0x400, v62
	s_waitcnt vmcnt(27)
	v_lshrrev_b32_e32 v2, 16, v7
	v_mul_f16_sdwa v23, v77, v7 dst_sel:DWORD dst_unused:UNUSED_PAD src0_sel:WORD_1 src1_sel:DWORD
	v_mul_f16_sdwa v24, v77, v2 dst_sel:DWORD dst_unused:UNUSED_PAD src0_sel:WORD_1 src1_sel:DWORD
	v_fma_f16 v2, v77, v2, -v23
	s_waitcnt vmcnt(24)
	v_lshrrev_b32_e32 v25, 16, v8
	s_waitcnt vmcnt(23)
	v_lshrrev_b32_e32 v26, 16, v9
	v_mul_f16_sdwa v23, v79, v8 dst_sel:DWORD dst_unused:UNUSED_PAD src0_sel:WORD_1 src1_sel:DWORD
	s_waitcnt vmcnt(22)
	v_mul_f16_sdwa v27, v78, v9 dst_sel:DWORD dst_unused:UNUSED_PAD src0_sel:WORD_1 src1_sel:DWORD
	v_fmac_f16_e32 v24, v77, v7
	v_mul_f16_sdwa v28, v79, v25 dst_sel:DWORD dst_unused:UNUSED_PAD src0_sel:WORD_1 src1_sel:DWORD
	v_mul_f16_sdwa v29, v78, v26 dst_sel:DWORD dst_unused:UNUSED_PAD src0_sel:WORD_1 src1_sel:DWORD
	v_fma_f16 v7, v79, v25, -v23
	v_fma_f16 v23, v78, v26, -v27
	v_pack_b32_f16 v2, v24, v2
	v_fmac_f16_e32 v28, v79, v8
	v_fmac_f16_e32 v29, v78, v9
	s_waitcnt vmcnt(20)
	v_lshrrev_b32_e32 v8, 16, v11
	v_mul_f16_sdwa v9, v75, v11 dst_sel:DWORD dst_unused:UNUSED_PAD src0_sel:WORD_1 src1_sel:DWORD
	v_pack_b32_f16 v7, v28, v7
	v_pack_b32_f16 v23, v29, v23
	v_mul_f16_sdwa v24, v75, v8 dst_sel:DWORD dst_unused:UNUSED_PAD src0_sel:WORD_1 src1_sel:DWORD
	v_fma_f16 v8, v75, v8, -v9
	s_waitcnt vmcnt(19)
	v_lshrrev_b32_e32 v9, 16, v12
	v_mul_f16_sdwa v25, v74, v12 dst_sel:DWORD dst_unused:UNUSED_PAD src0_sel:WORD_1 src1_sel:DWORD
	ds_write_b32 v62, v7 offset:576
	ds_write_b32 v62, v23 offset:1152
	v_fmac_f16_e32 v24, v75, v11
	s_waitcnt vmcnt(17)
	v_lshrrev_b32_e32 v11, 16, v13
	v_mul_f16_sdwa v7, v74, v9 dst_sel:DWORD dst_unused:UNUSED_PAD src0_sel:WORD_1 src1_sel:DWORD
	v_mul_f16_sdwa v23, v72, v13 dst_sel:DWORD dst_unused:UNUSED_PAD src0_sel:WORD_1 src1_sel:DWORD
	v_fma_f16 v9, v74, v9, -v25
	v_pack_b32_f16 v8, v24, v8
	s_waitcnt vmcnt(16)
	v_mul_f16_sdwa v24, v71, v14 dst_sel:DWORD dst_unused:UNUSED_PAD src0_sel:WORD_1 src1_sel:DWORD
	v_fmac_f16_e32 v7, v74, v12
	v_mul_f16_sdwa v12, v72, v11 dst_sel:DWORD dst_unused:UNUSED_PAD src0_sel:WORD_1 src1_sel:DWORD
	v_fma_f16 v11, v72, v11, -v23
	v_lshrrev_b32_e32 v23, 16, v14
	ds_write2_b32 v62, v2, v8 offset1:27
	v_pack_b32_f16 v2, v7, v9
	v_fmac_f16_e32 v12, v72, v13
	s_waitcnt vmcnt(15)
	v_lshrrev_b32_e32 v8, 16, v18
	v_mul_f16_sdwa v7, v71, v23 dst_sel:DWORD dst_unused:UNUSED_PAD src0_sel:WORD_1 src1_sel:DWORD
	v_fma_f16 v9, v71, v23, -v24
	s_waitcnt vmcnt(14)
	v_mul_f16_sdwa v13, v70, v18 dst_sel:DWORD dst_unused:UNUSED_PAD src0_sel:WORD_1 src1_sel:DWORD
	v_pack_b32_f16 v11, v12, v11
	v_mul_f16_sdwa v12, v70, v8 dst_sel:DWORD dst_unused:UNUSED_PAD src0_sel:WORD_1 src1_sel:DWORD
	v_fmac_f16_e32 v7, v71, v14
	s_waitcnt vmcnt(11)
	v_lshrrev_b32_e32 v14, 16, v19
	v_fma_f16 v8, v70, v8, -v13
	v_mul_f16_sdwa v13, v69, v19 dst_sel:DWORD dst_unused:UNUSED_PAD src0_sel:WORD_1 src1_sel:DWORD
	v_fmac_f16_e32 v12, v70, v18
	v_pack_b32_f16 v7, v7, v9
	v_mul_f16_sdwa v9, v69, v14 dst_sel:DWORD dst_unused:UNUSED_PAD src0_sel:WORD_1 src1_sel:DWORD
	s_waitcnt vmcnt(9)
	v_lshrrev_b32_e32 v18, 16, v20
	v_mul_f16_sdwa v23, v68, v20 dst_sel:DWORD dst_unused:UNUSED_PAD src0_sel:WORD_1 src1_sel:DWORD
	v_fma_f16 v13, v69, v14, -v13
	v_pack_b32_f16 v8, v12, v8
	v_fmac_f16_e32 v9, v69, v19
	v_mul_f16_sdwa v12, v68, v18 dst_sel:DWORD dst_unused:UNUSED_PAD src0_sel:WORD_1 src1_sel:DWORD
	v_fma_f16 v14, v68, v18, -v23
	s_waitcnt vmcnt(7)
	v_lshrrev_b32_e32 v18, 16, v21
	v_mul_f16_sdwa v19, v67, v21 dst_sel:DWORD dst_unused:UNUSED_PAD src0_sel:WORD_1 src1_sel:DWORD
	ds_write2_b32 v62, v2, v8 offset0:171 offset1:198
	v_pack_b32_f16 v2, v9, v13
	v_fmac_f16_e32 v12, v68, v20
	v_mul_f16_sdwa v8, v67, v18 dst_sel:DWORD dst_unused:UNUSED_PAD src0_sel:WORD_1 src1_sel:DWORD
	s_waitcnt vmcnt(6)
	v_lshrrev_b32_e32 v9, 16, v22
	v_fma_f16 v13, v67, v18, -v19
	v_mul_f16_sdwa v18, v66, v22 dst_sel:DWORD dst_unused:UNUSED_PAD src0_sel:WORD_1 src1_sel:DWORD
	ds_write2_b32 v4, v11, v2 offset0:59 offset1:86
	v_pack_b32_f16 v2, v12, v14
	s_waitcnt vmcnt(5)
	v_lshrrev_b32_e32 v12, 16, v5
	v_mul_f16_sdwa v11, v66, v9 dst_sel:DWORD dst_unused:UNUSED_PAD src0_sel:WORD_1 src1_sel:DWORD
	v_fma_f16 v9, v66, v9, -v18
	s_waitcnt vmcnt(4)
	v_mul_f16_sdwa v14, v65, v5 dst_sel:DWORD dst_unused:UNUSED_PAD src0_sel:WORD_1 src1_sel:DWORD
	s_waitcnt vmcnt(3)
	v_lshrrev_b32_e32 v18, 16, v3
	s_waitcnt vmcnt(2)
	v_lshrrev_b32_e32 v19, 16, v6
	v_mul_f16_sdwa v20, v65, v12 dst_sel:DWORD dst_unused:UNUSED_PAD src0_sel:WORD_1 src1_sel:DWORD
	v_fmac_f16_e32 v8, v67, v21
	v_fma_f16 v12, v65, v12, -v14
	s_waitcnt vmcnt(0)
	v_mul_f16_sdwa v14, v64, v3 dst_sel:DWORD dst_unused:UNUSED_PAD src0_sel:WORD_1 src1_sel:DWORD
	v_mul_f16_sdwa v21, v64, v18 dst_sel:DWORD dst_unused:UNUSED_PAD src0_sel:WORD_1 src1_sel:DWORD
	v_fmac_f16_e32 v11, v66, v22
	v_mul_f16_sdwa v22, v63, v19 dst_sel:DWORD dst_unused:UNUSED_PAD src0_sel:WORD_1 src1_sel:DWORD
	v_mul_f16_sdwa v23, v63, v6 dst_sel:DWORD dst_unused:UNUSED_PAD src0_sel:WORD_1 src1_sel:DWORD
	v_fmac_f16_e32 v20, v65, v5
	v_fma_f16 v5, v64, v18, -v14
	v_fmac_f16_e32 v21, v64, v3
	v_fmac_f16_e32 v22, v63, v6
	v_fma_f16 v3, v63, v19, -v23
	v_pack_b32_f16 v6, v8, v13
	v_pack_b32_f16 v8, v11, v9
	;; [unrolled: 1-line block ×5, first 2 shown]
	ds_write2_b32 v62, v7, v2 offset0:54 offset1:81
	ds_write_b32 v62, v9 offset:432
	ds_write2_b32 v62, v6, v5 offset0:225 offset1:252
	ds_write2_b32 v4, v8, v3 offset0:113 offset1:140
	s_and_saveexec_b32 s2, vcc_lo
	s_cbranch_execz .LBB0_3
; %bb.2:
	v_add_co_u32 v0, s0, v0, s0
	v_add_co_ci_u32_e64 v1, s0, s1, v1, s0
	v_add_co_u32 v2, s0, v0, s14
	v_add_co_ci_u32_e64 v3, s0, s15, v1, s0
	;; [unrolled: 2-line block ×3, first 2 shown]
	global_load_dword v0, v[0:1], off
	global_load_dword v1, v[15:16], off offset:540
	global_load_dword v2, v[2:3], off
	global_load_dword v3, v[5:6], off
	s_clause 0x1
	global_load_dword v5, v[15:16], off offset:1116
	global_load_dword v6, v[15:16], off offset:1692
	s_waitcnt vmcnt(5)
	v_lshrrev_b32_e32 v7, 16, v0
	s_waitcnt vmcnt(4)
	v_mul_f16_sdwa v8, v1, v0 dst_sel:DWORD dst_unused:UNUSED_PAD src0_sel:WORD_1 src1_sel:DWORD
	s_waitcnt vmcnt(3)
	v_lshrrev_b32_e32 v9, 16, v2
	s_waitcnt vmcnt(2)
	v_lshrrev_b32_e32 v10, 16, v3
	v_mul_f16_sdwa v11, v1, v7 dst_sel:DWORD dst_unused:UNUSED_PAD src0_sel:WORD_1 src1_sel:DWORD
	v_fma_f16 v7, v1, v7, -v8
	s_waitcnt vmcnt(1)
	v_mul_f16_sdwa v8, v5, v2 dst_sel:DWORD dst_unused:UNUSED_PAD src0_sel:WORD_1 src1_sel:DWORD
	v_mul_f16_sdwa v12, v5, v9 dst_sel:DWORD dst_unused:UNUSED_PAD src0_sel:WORD_1 src1_sel:DWORD
	s_waitcnt vmcnt(0)
	v_mul_f16_sdwa v13, v6, v10 dst_sel:DWORD dst_unused:UNUSED_PAD src0_sel:WORD_1 src1_sel:DWORD
	v_mul_f16_sdwa v14, v6, v3 dst_sel:DWORD dst_unused:UNUSED_PAD src0_sel:WORD_1 src1_sel:DWORD
	v_fmac_f16_e32 v11, v1, v0
	v_fma_f16 v0, v5, v9, -v8
	v_fmac_f16_e32 v12, v5, v2
	v_fmac_f16_e32 v13, v6, v3
	v_fma_f16 v1, v6, v10, -v14
	v_pack_b32_f16 v2, v11, v7
	v_add_nc_u32_e32 v3, 0x200, v62
	v_pack_b32_f16 v0, v12, v0
	v_pack_b32_f16 v1, v13, v1
	ds_write2_b32 v3, v2, v0 offset0:7 offset1:151
	ds_write_b32 v62, v1 offset:1692
.LBB0_3:
	s_or_b32 exec_lo, exec_lo, s2
	s_waitcnt lgkmcnt(0)
	s_barrier
	buffer_gl0_inv
	ds_read2_b32 v[18:19], v62 offset1:27
	ds_read2_b32 v[2:3], v62 offset0:108 offset1:144
	ds_read2_b32 v[10:11], v4 offset0:32 offset1:59
	;; [unrolled: 1-line block ×6, first 2 shown]
	ds_read_b32 v20, v62 offset:1584
                                        ; implicit-def: $vgpr0
                                        ; implicit-def: $vgpr14
	s_and_saveexec_b32 s0, vcc_lo
	s_cbranch_execz .LBB0_5
; %bb.4:
	v_add_nc_u32_e32 v0, 0x200, v62
	ds_read2_b32 v[0:1], v0 offset0:7 offset1:151
	ds_read_b32 v14, v62 offset:1692
.LBB0_5:
	s_or_b32 exec_lo, exec_lo, s0
	v_add_co_u32 v100, s0, v76, 27
	v_add_co_ci_u32_e64 v22, null, 0, 0, s0
	v_add_co_u32 v98, s0, 0x51, v76
	v_add_co_ci_u32_e64 v21, null, 0, 0, s0
	s_waitcnt lgkmcnt(6)
	v_pk_add_f16 v21, v18, v3
	s_waitcnt lgkmcnt(5)
	v_pk_add_f16 v27, v3, v10
	v_pk_add_f16 v3, v3, v10 neg_lo:[0,1] neg_hi:[0,1]
	v_mul_lo_u16 v28, v76, 3
	s_waitcnt lgkmcnt(0)
	v_pk_add_f16 v10, v21, v10
	v_pk_fma_f16 v18, v27, 0.5, v18 op_sel_hi:[1,0,1] neg_lo:[1,0,0] neg_hi:[1,0,0]
	v_pk_mul_f16 v3, 0x3aee, v3 op_sel_hi:[0,1]
	v_and_b32_e32 v28, 0xffff, v28
	v_pk_add_f16 v21, v12, v11
	s_barrier
	buffer_gl0_inv
	v_pk_add_f16 v30, v18, v3 op_sel:[0,1] op_sel_hi:[1,0]
	v_pk_add_f16 v3, v18, v3 op_sel:[0,1] op_sel_hi:[1,0] neg_lo:[0,1] neg_hi:[0,1]
	v_lshl_add_u32 v81, v28, 2, v80
	v_pk_add_f16 v23, v19, v12
	v_pk_add_f16 v26, v8, v13
	v_add_co_u32 v99, null, v76, 54
	v_bfi_b32 v18, 0xffff, v30, v3
	v_bfi_b32 v3, 0xffff, v3, v30
	s_load_dwordx2 s[2:3], s[4:5], 0x8
	v_pk_add_f16 v24, v1, v14
	v_pk_add_f16 v25, v1, v14 neg_lo:[0,1] neg_hi:[0,1]
	ds_write2_b32 v81, v10, v18 offset1:1
	v_pk_add_f16 v10, v12, v11 neg_lo:[0,1] neg_hi:[0,1]
	v_mul_u32_u24_e32 v12, 3, v100
	v_pk_fma_f16 v18, v21, 0.5, v19 op_sel_hi:[1,0,1] neg_lo:[1,0,0] neg_hi:[1,0,0]
	v_pk_add_f16 v19, v13, v4
	v_pk_add_f16 v13, v13, v4 neg_lo:[0,1] neg_hi:[0,1]
	v_pk_mul_f16 v10, 0x3aee, v10 op_sel_hi:[0,1]
	v_lshl_add_u32 v83, v12, 2, v80
	v_pk_add_f16 v11, v23, v11
	v_pk_fma_f16 v8, v19, 0.5, v8 op_sel_hi:[1,0,1] neg_lo:[1,0,0] neg_hi:[1,0,0]
	v_pk_mul_f16 v12, 0x3aee, v13 op_sel_hi:[0,1]
	v_pk_add_f16 v13, v18, v10 op_sel:[0,1] op_sel_hi:[1,0]
	v_pk_add_f16 v10, v18, v10 op_sel:[0,1] op_sel_hi:[1,0] neg_lo:[0,1] neg_hi:[0,1]
	v_mul_u32_u24_e32 v18, 3, v99
	v_pk_add_f16 v4, v26, v4
	v_pk_add_f16 v19, v8, v12 op_sel:[0,1] op_sel_hi:[1,0]
	v_pk_add_f16 v8, v8, v12 op_sel:[0,1] op_sel_hi:[1,0] neg_lo:[0,1] neg_hi:[0,1]
	v_bfi_b32 v12, 0xffff, v13, v10
	v_bfi_b32 v10, 0xffff, v10, v13
	v_lshl_add_u32 v82, v18, 2, v80
	ds_write_b32 v81, v3 offset:8
	ds_write2_b32 v83, v11, v12 offset1:1
	ds_write_b32 v83, v10 offset:8
	v_bfi_b32 v13, 0xffff, v19, v8
	v_pk_add_f16 v3, v6, v5
	v_pk_add_f16 v27, v9, v6
	v_pk_add_f16 v6, v6, v5 neg_lo:[0,1] neg_hi:[0,1]
	v_pk_add_f16 v29, v2, v7
	ds_write2_b32 v82, v4, v13 offset1:1
	v_bfi_b32 v4, 0xffff, v8, v19
	v_pk_fma_f16 v3, v3, 0.5, v9 op_sel_hi:[1,0,1] neg_lo:[1,0,0] neg_hi:[1,0,0]
	v_pk_add_f16 v9, v7, v20
	v_pk_add_f16 v7, v7, v20 neg_lo:[0,1] neg_hi:[0,1]
	v_add_co_u32 v97, null, 0x6c, v76
	v_pk_fma_f16 v24, v24, 0.5, v0 op_sel_hi:[1,0,1] neg_lo:[1,0,0] neg_hi:[1,0,0]
	v_pk_mul_f16 v25, 0x3aee, v25 op_sel_hi:[0,1]
	v_pk_mul_f16 v6, 0x3aee, v6 op_sel_hi:[0,1]
	v_mul_u32_u24_e32 v8, 3, v98
	ds_write_b32 v82, v4 offset:8
	v_pk_fma_f16 v2, v9, 0.5, v2 op_sel_hi:[1,0,1] neg_lo:[1,0,0] neg_hi:[1,0,0]
	v_pk_mul_f16 v4, 0x3aee, v7 op_sel_hi:[0,1]
	v_add_co_u32 v95, s0, 0x87, v76
	v_pk_add_f16 v43, v24, v25 op_sel:[0,1] op_sel_hi:[1,0]
	v_pk_add_f16 v7, v3, v6 op_sel:[0,1] op_sel_hi:[1,0]
	v_pk_add_f16 v3, v3, v6 op_sel:[0,1] op_sel_hi:[1,0] neg_lo:[0,1] neg_hi:[0,1]
	v_mul_u32_u24_e32 v6, 3, v97
	v_lshl_add_u32 v85, v8, 2, v80
	v_pk_add_f16 v8, v2, v4 op_sel:[0,1] op_sel_hi:[1,0]
	v_pk_add_f16 v2, v2, v4 op_sel:[0,1] op_sel_hi:[1,0] neg_lo:[0,1] neg_hi:[0,1]
	v_add_co_ci_u32_e64 v96, null, 0, 0, s0
	v_pk_add_f16 v46, v24, v25 op_sel:[0,1] op_sel_hi:[1,0] neg_lo:[0,1] neg_hi:[0,1]
	v_lshrrev_b32_e32 v47, 16, v43
	v_pk_add_f16 v5, v27, v5
	v_bfi_b32 v4, 0xffff, v7, v3
	v_lshl_add_u32 v87, v6, 2, v80
	v_mul_u32_u24_e32 v86, 3, v95
	v_bfi_b32 v3, 0xffff, v3, v7
	v_pk_add_f16 v6, v29, v20
	v_bfi_b32 v7, 0xffff, v8, v2
	v_bfi_b32 v2, 0xffff, v2, v8
	ds_write2_b32 v85, v5, v4 offset1:1
	ds_write_b32 v85, v3 offset:8
	ds_write2_b32 v87, v6, v7 offset1:1
	ds_write_b32 v87, v2 offset:8
	s_and_saveexec_b32 s0, vcc_lo
	s_cbranch_execz .LBB0_7
; %bb.6:
	v_pk_add_f16 v0, v1, v0
	v_lshl_add_u32 v1, v86, 2, v80
	v_bfi_b32 v2, 0xffff, v43, v46
	v_perm_b32 v3, v47, v46, 0x5040100
	v_pk_add_f16 v0, v14, v0
	ds_write_b32 v1, v0
	ds_write2_b32 v1, v2, v3 offset0:1 offset1:2
.LBB0_7:
	s_or_b32 exec_lo, exec_lo, s0
	v_and_b32_e32 v0, 0xff, v76
	s_waitcnt lgkmcnt(0)
	s_barrier
	buffer_gl0_inv
	v_add_nc_u32_e32 v20, 0x400, v62
	v_mul_lo_u16 v0, 0xab, v0
	v_mov_b32_e32 v38, 48
	v_lshrrev_b16 v21, 9, v0
	v_mul_lo_u16 v0, v21, 3
	v_mul_u32_u24_sdwa v21, v21, v38 dst_sel:DWORD dst_unused:UNUSED_PAD src0_sel:WORD_0 src1_sel:DWORD
	v_sub_nc_u16 v0, v76, v0
	v_and_b32_e32 v37, 0xff, v0
	v_mad_u64_u32 v[12:13], null, v37, 60, s[2:3]
	v_or_b32_e32 v21, v21, v37
	s_clause 0x3
	global_load_dwordx4 v[8:11], v[12:13], off
	global_load_dwordx4 v[4:7], v[12:13], off offset:16
	global_load_dwordx4 v[0:3], v[12:13], off offset:32
	global_load_dwordx3 v[12:14], v[12:13], off offset:48
	ds_read2_b32 v[18:19], v62 offset0:54 offset1:81
	ds_read2_b32 v[23:24], v62 offset0:108 offset1:135
	;; [unrolled: 1-line block ×4, first 2 shown]
	ds_read2_b32 v[29:30], v62 offset1:27
	ds_read2_b32 v[31:32], v20 offset0:14 offset1:41
	ds_read2_b32 v[33:34], v20 offset0:68 offset1:95
	;; [unrolled: 1-line block ×3, first 2 shown]
	v_lshl_add_u32 v84, v21, 2, v80
	s_waitcnt vmcnt(0) lgkmcnt(0)
	s_barrier
	buffer_gl0_inv
	v_lshrrev_b32_e32 v45, 16, v27
	v_lshrrev_b32_e32 v38, 16, v18
	;; [unrolled: 1-line block ×16, first 2 shown]
	v_mul_f16_sdwa v21, v38, v9 dst_sel:DWORD dst_unused:UNUSED_PAD src0_sel:DWORD src1_sel:WORD_1
	v_mul_f16_sdwa v56, v18, v9 dst_sel:DWORD dst_unused:UNUSED_PAD src0_sel:DWORD src1_sel:WORD_1
	;; [unrolled: 1-line block ×30, first 2 shown]
	v_fma_f16 v18, v18, v9, -v21
	v_fma_f16 v19, v19, v10, -v57
	;; [unrolled: 1-line block ×10, first 2 shown]
	v_fmac_f16_e32 v56, v38, v9
	v_fmac_f16_e32 v58, v39, v10
	;; [unrolled: 1-line block ×3, first 2 shown]
	v_fma_f16 v32, v33, v3, -v109
	v_fma_f16 v33, v34, v12, -v110
	v_fmac_f16_e32 v89, v41, v4
	v_fmac_f16_e32 v91, v42, v5
	;; [unrolled: 1-line block ×10, first 2 shown]
	v_fma_f16 v30, v30, v8, -v114
	v_fma_f16 v34, v35, v13, -v115
	v_fmac_f16_e32 v116, v54, v13
	v_fma_f16 v35, v36, v14, -v117
	v_fmac_f16_e32 v118, v55, v14
	v_sub_f16_e32 v26, v29, v26
	v_sub_f16_e32 v36, v49, v102
	;; [unrolled: 1-line block ×16, first 2 shown]
	v_fma_f16 v29, v29, 2.0, -v26
	v_fma_f16 v45, v49, 2.0, -v36
	;; [unrolled: 1-line block ×16, first 2 shown]
	v_sub_f16_e32 v37, v26, v37
	v_add_f16_e32 v32, v36, v32
	v_sub_f16_e32 v39, v28, v39
	v_add_f16_e32 v34, v38, v34
	;; [unrolled: 2-line block ×4, first 2 shown]
	v_sub_f16_e32 v21, v29, v21
	v_sub_f16_e32 v48, v45, v48
	v_fma_f16 v26, v26, 2.0, -v37
	v_fma_f16 v36, v36, 2.0, -v32
	v_sub_f16_e32 v24, v18, v24
	v_sub_f16_e32 v50, v49, v50
	v_fma_f16 v28, v28, 2.0, -v39
	v_fma_f16 v38, v38, 2.0, -v34
	;; [unrolled: 4-line block ×4, first 2 shown]
	v_fmamk_f16 v55, v39, 0x39a8, v37
	v_fmamk_f16 v56, v34, 0x39a8, v32
	;; [unrolled: 1-line block ×4, first 2 shown]
	v_fma_f16 v18, v18, 2.0, -v24
	v_fma_f16 v49, v49, 2.0, -v50
	;; [unrolled: 1-line block ×4, first 2 shown]
	v_fmamk_f16 v59, v28, 0xb9a8, v26
	v_fmac_f16_e32 v55, 0xb9a8, v34
	v_fmamk_f16 v34, v38, 0xb9a8, v36
	v_sub_f16_e32 v50, v21, v50
	v_add_f16_e32 v24, v48, v24
	v_fmac_f16_e32 v56, 0x39a8, v39
	v_fmamk_f16 v39, v31, 0xb9a8, v27
	v_fmac_f16_e32 v57, 0xb9a8, v35
	v_fmamk_f16 v35, v42, 0xb9a8, v40
	v_sub_f16_e32 v54, v23, v54
	v_add_f16_e32 v25, v52, v25
	v_fma_f16 v45, v45, 2.0, -v48
	v_fmac_f16_e32 v58, 0x39a8, v44
	v_fma_f16 v29, v29, 2.0, -v21
	v_fma_f16 v30, v30, 2.0, -v23
	;; [unrolled: 1-line block ×3, first 2 shown]
	v_fmac_f16_e32 v59, 0xb9a8, v38
	v_fmac_f16_e32 v34, 0x39a8, v28
	v_fma_f16 v21, v21, 2.0, -v50
	v_fma_f16 v28, v48, 2.0, -v24
	v_fmac_f16_e32 v39, 0xb9a8, v42
	v_fmac_f16_e32 v35, 0x39a8, v31
	v_fma_f16 v23, v23, 2.0, -v54
	v_fma_f16 v31, v52, 2.0, -v25
	v_sub_f16_e32 v44, v45, v49
	v_fma_f16 v37, v37, 2.0, -v55
	v_fma_f16 v32, v32, 2.0, -v56
	;; [unrolled: 1-line block ×4, first 2 shown]
	v_fmamk_f16 v48, v54, 0x39a8, v50
	v_fmamk_f16 v49, v25, 0x39a8, v24
	;; [unrolled: 1-line block ×4, first 2 shown]
	v_sub_f16_e32 v18, v29, v18
	v_sub_f16_e32 v19, v30, v19
	v_sub_f16_e32 v38, v51, v53
	v_fma_f16 v26, v26, 2.0, -v59
	v_fma_f16 v36, v36, 2.0, -v34
	;; [unrolled: 1-line block ×4, first 2 shown]
	v_fmamk_f16 v52, v23, 0xb9a8, v21
	v_fmamk_f16 v53, v31, 0xb9a8, v28
	v_fmac_f16_e32 v48, 0xb9a8, v25
	v_fmamk_f16 v25, v41, 0xb61f, v37
	v_fmac_f16_e32 v49, 0x39a8, v54
	;; [unrolled: 2-line block ×4, first 2 shown]
	v_fmamk_f16 v57, v35, 0x361f, v34
	v_fma_f16 v29, v29, 2.0, -v18
	v_fma_f16 v45, v45, 2.0, -v44
	;; [unrolled: 1-line block ×4, first 2 shown]
	v_sub_f16_e32 v38, v18, v38
	v_add_f16_e32 v19, v44, v19
	v_fmac_f16_e32 v52, 0xb9a8, v31
	v_fmamk_f16 v31, v27, 0xbb64, v26
	v_fmac_f16_e32 v53, 0x39a8, v23
	v_fmamk_f16 v23, v40, 0xbb64, v36
	v_fmac_f16_e32 v25, 0xbb64, v33
	v_fmac_f16_e32 v54, 0x3b64, v41
	;; [unrolled: 1-line block ×4, first 2 shown]
	v_sub_f16_e32 v30, v29, v30
	v_sub_f16_e32 v51, v45, v51
	v_fma_f16 v18, v18, 2.0, -v38
	v_fma_f16 v33, v44, 2.0, -v19
	;; [unrolled: 1-line block ×6, first 2 shown]
	v_fmac_f16_e32 v31, 0xb61f, v40
	v_fmac_f16_e32 v23, 0x361f, v27
	v_fma_f16 v21, v21, 2.0, -v52
	v_fma_f16 v27, v28, 2.0, -v53
	;; [unrolled: 1-line block ×8, first 2 shown]
	v_pack_b32_f16 v18, v18, v33
	v_pack_b32_f16 v24, v35, v24
	;; [unrolled: 1-line block ×3, first 2 shown]
	v_fma_f16 v26, v26, 2.0, -v31
	v_fma_f16 v36, v36, 2.0, -v23
	v_pack_b32_f16 v19, v38, v19
	v_pack_b32_f16 v38, v48, v49
	v_pack_b32_f16 v44, v42, v101
	v_pack_b32_f16 v35, v52, v53
	v_pack_b32_f16 v25, v25, v54
	v_pack_b32_f16 v39, v58, v57
	v_pack_b32_f16 v21, v21, v27
	v_pack_b32_f16 v27, v28, v32
	v_pack_b32_f16 v28, v37, v34
	v_pack_b32_f16 v30, v30, v51
	v_pack_b32_f16 v23, v31, v23
	v_pack_b32_f16 v29, v29, v45
	ds_write2_b32 v84, v24, v33 offset0:18 offset1:21
	v_pack_b32_f16 v24, v26, v36
	ds_write2_b32 v84, v38, v44 offset0:42 offset1:45
	ds_write2_b32 v84, v35, v25 offset0:30 offset1:33
	ds_write2_b32 v84, v19, v39 offset0:36 offset1:39
	ds_write2_b32 v84, v21, v27 offset0:6 offset1:9
	ds_write2_b32 v84, v18, v28 offset0:12 offset1:15
	ds_write2_b32 v84, v30, v23 offset0:24 offset1:27
	ds_write2_b32 v84, v29, v24 offset1:3
	s_waitcnt lgkmcnt(0)
	s_barrier
	buffer_gl0_inv
	ds_read2_b32 v[34:35], v62 offset1:27
	ds_read2_b32 v[18:19], v62 offset0:108 offset1:144
	ds_read2_b32 v[40:41], v20 offset0:32 offset1:59
	ds_read2_b32 v[44:45], v62 offset0:171 offset1:198
	ds_read2_b32 v[32:33], v62 offset0:54 offset1:81
	ds_read2_b32 v[38:39], v20 offset0:86 offset1:113
	ds_read2_b32 v[36:37], v62 offset0:225 offset1:252
	ds_read_b32 v48, v62 offset:1584
	v_lshrrev_b32_e32 v49, 16, v46
	s_and_saveexec_b32 s0, vcc_lo
	s_cbranch_execz .LBB0_9
; %bb.8:
	v_add_nc_u32_e32 v20, 0x200, v62
	ds_read2_b32 v[42:43], v20 offset0:7 offset1:151
	ds_read_b32 v46, v62 offset:1692
	s_waitcnt lgkmcnt(1)
	v_lshrrev_b32_e32 v101, 16, v42
	v_lshrrev_b32_e32 v49, 16, v43
	s_waitcnt lgkmcnt(0)
	v_lshrrev_b32_e32 v47, 16, v46
.LBB0_9:
	s_or_b32 exec_lo, exec_lo, s0
	v_add_co_u32 v23, s0, 0xffffffeb, v76
	v_add_co_ci_u32_e64 v24, null, 0, -1, s0
	v_cmp_gt_u16_e64 s0, 21, v76
	v_lshlrev_b32_e32 v52, 3, v76
	v_mov_b32_e32 v28, 3
	v_and_b32_e32 v29, 0xff, v95
	v_mov_b32_e32 v60, 0x90
	v_cndmask_b32_e64 v51, v24, v22, s0
	v_and_b32_e32 v24, 0xff, v98
	v_cndmask_b32_e64 v50, v23, v100, s0
	global_load_dwordx2 v[20:21], v52, s[2:3] offset:180
	s_waitcnt lgkmcnt(6)
	v_lshrrev_b32_e32 v58, 16, v19
	s_waitcnt lgkmcnt(5)
	v_lshrrev_b32_e32 v59, 16, v40
	v_mul_lo_u16 v24, 0xab, v24
	v_lshlrev_b64 v[22:23], 3, v[50:51]
	v_add_nc_u32_e32 v51, 6, v76
	v_lshrrev_b32_e32 v57, 16, v34
	s_waitcnt lgkmcnt(4)
	v_lshrrev_b32_e32 v103, 16, v44
	v_lshrrev_b16 v53, 13, v24
	v_lshrrev_b32_e32 v104, 16, v41
	v_add_co_u32 v22, s0, s2, v22
	v_add_co_ci_u32_e64 v23, s0, s3, v23, s0
	v_lshlrev_b32_e32 v25, 3, v51
	v_mul_lo_u16 v24, v53, 48
	v_cmp_lt_u16_e64 s0, 20, v76
	global_load_dwordx2 v[26:27], v[22:23], off offset:180
	v_mul_u32_u24_sdwa v53, v53, v60 dst_sel:DWORD dst_unused:UNUSED_PAD src0_sel:WORD_0 src1_sel:DWORD
	global_load_dwordx2 v[22:23], v25, s[2:3] offset:180
	v_and_b32_e32 v25, 0xff, v97
	v_sub_nc_u16 v54, v98, v24
	v_cndmask_b32_e64 v61, 0, 0x90, s0
	v_add_co_u32 v60, s0, s2, v52
	v_mul_lo_u16 v24, 0xab, v25
	v_lshlrev_b32_sdwa v25, v28, v54 dst_sel:DWORD dst_unused:UNUSED_PAD src0_sel:DWORD src1_sel:BYTE_0
	v_add_nc_u32_e32 v50, v50, v61
	v_add_nc_u32_sdwa v53, v53, v54 dst_sel:DWORD dst_unused:UNUSED_PAD src0_sel:DWORD src1_sel:BYTE_0
	v_lshl_add_u32 v92, v51, 2, v80
	v_lshrrev_b16 v24, 13, v24
	global_load_dwordx2 v[30:31], v25, s[2:3] offset:180
	v_mul_lo_u16 v25, 0xab, v29
	v_lshl_add_u32 v93, v50, 2, v80
	v_lshl_add_u32 v90, v53, 2, v80
	v_mul_lo_u16 v24, v24, 48
	v_lshrrev_b32_e32 v106, 16, v45
	v_lshrrev_b16 v25, 13, v25
	s_waitcnt lgkmcnt(2)
	v_lshrrev_b32_e32 v107, 16, v38
	s_waitcnt lgkmcnt(1)
	v_lshrrev_b32_e32 v109, 16, v36
	v_sub_nc_u16 v24, v97, v24
	v_lshrrev_b32_e32 v110, 16, v39
	v_mul_lo_u16 v25, v25, 48
	v_lshrrev_b32_e32 v102, 16, v35
	v_lshrrev_b32_e32 v105, 16, v32
	v_and_b32_e32 v55, 0xff, v24
	v_lshrrev_b32_e32 v112, 16, v37
	v_sub_nc_u16 v56, v95, v25
	s_waitcnt lgkmcnt(0)
	v_lshrrev_b32_e32 v113, 16, v48
	v_lshrrev_b32_e32 v108, 16, v33
	v_lshlrev_b32_e32 v24, 3, v55
	v_lshl_add_u32 v91, v55, 2, v80
	v_lshlrev_b32_sdwa v25, v28, v56 dst_sel:DWORD dst_unused:UNUSED_PAD src0_sel:DWORD src1_sel:BYTE_0
	s_clause 0x1
	global_load_dwordx2 v[28:29], v24, s[2:3] offset:180
	global_load_dwordx2 v[24:25], v25, s[2:3] offset:180
	v_and_b32_e32 v89, 0xff, v56
	s_waitcnt vmcnt(0)
	s_barrier
	buffer_gl0_inv
	v_lshrrev_b32_e32 v111, 16, v18
	v_add_co_ci_u32_e64 v61, null, s3, 0, s0
	v_mul_f16_sdwa v50, v58, v20 dst_sel:DWORD dst_unused:UNUSED_PAD src0_sel:DWORD src1_sel:WORD_1
	v_mul_f16_sdwa v51, v19, v20 dst_sel:DWORD dst_unused:UNUSED_PAD src0_sel:DWORD src1_sel:WORD_1
	;; [unrolled: 1-line block ×4, first 2 shown]
	v_fma_f16 v19, v19, v20, -v50
	v_fmac_f16_e32 v51, v58, v20
	v_fma_f16 v40, v40, v21, -v52
	v_fmac_f16_e32 v53, v59, v21
	v_add_nc_u32_e32 v50, 0x400, v91
	v_add_f16_e32 v52, v34, v19
	v_add_f16_e32 v56, v57, v51
	;; [unrolled: 1-line block ×3, first 2 shown]
	v_sub_f16_e32 v55, v51, v53
	v_add_f16_e32 v51, v51, v53
	v_sub_f16_e32 v19, v19, v40
	v_add_f16_e32 v40, v52, v40
	v_fma_f16 v34, -0.5, v54, v34
	v_add_f16_e32 v52, v56, v53
	v_fmac_f16_e32 v57, -0.5, v51
	v_mul_f16_sdwa v51, v103, v26 dst_sel:DWORD dst_unused:UNUSED_PAD src0_sel:DWORD src1_sel:WORD_1
	v_mul_f16_sdwa v53, v44, v26 dst_sel:DWORD dst_unused:UNUSED_PAD src0_sel:DWORD src1_sel:WORD_1
	;; [unrolled: 1-line block ×8, first 2 shown]
	v_fmamk_f16 v116, v55, 0x3aee, v34
	v_fmac_f16_e32 v34, 0xbaee, v55
	v_fmamk_f16 v55, v19, 0xbaee, v57
	v_fmac_f16_e32 v57, 0x3aee, v19
	v_pack_b32_f16 v19, v40, v52
	v_fma_f16 v40, v44, v26, -v51
	v_fmac_f16_e32 v53, v103, v26
	v_fma_f16 v41, v41, v27, -v54
	v_fmac_f16_e32 v56, v104, v27
	;; [unrolled: 2-line block ×3, first 2 shown]
	v_fmac_f16_e32 v115, v107, v23
	v_mul_f16_sdwa v45, v109, v30 dst_sel:DWORD dst_unused:UNUSED_PAD src0_sel:DWORD src1_sel:WORD_1
	v_mul_f16_sdwa v51, v36, v30 dst_sel:DWORD dst_unused:UNUSED_PAD src0_sel:DWORD src1_sel:WORD_1
	;; [unrolled: 1-line block ×4, first 2 shown]
	v_fma_f16 v38, v38, v23, -v114
	v_pack_b32_f16 v55, v116, v55
	v_add_f16_e32 v58, v40, v41
	v_sub_f16_e32 v103, v53, v56
	v_add_f16_e32 v104, v102, v53
	v_add_f16_e32 v53, v53, v56
	v_sub_f16_e32 v114, v59, v115
	v_add_f16_e32 v116, v105, v59
	v_add_f16_e32 v59, v59, v115
	v_fma_f16 v36, v36, v30, -v45
	v_fmac_f16_e32 v51, v109, v30
	v_fma_f16 v39, v39, v31, -v52
	v_fmac_f16_e32 v54, v110, v31
	v_mul_f16_sdwa v45, v112, v28 dst_sel:DWORD dst_unused:UNUSED_PAD src0_sel:DWORD src1_sel:WORD_1
	v_mul_f16_sdwa v52, v37, v28 dst_sel:DWORD dst_unused:UNUSED_PAD src0_sel:DWORD src1_sel:WORD_1
	;; [unrolled: 1-line block ×5, first 2 shown]
	v_pack_b32_f16 v34, v34, v57
	v_add_f16_e32 v57, v35, v40
	v_add_f16_e32 v106, v32, v44
	;; [unrolled: 1-line block ×3, first 2 shown]
	v_mul_f16_sdwa v117, v49, v24 dst_sel:DWORD dst_unused:UNUSED_PAD src0_sel:DWORD src1_sel:WORD_1
	v_mul_f16_sdwa v119, v47, v25 dst_sel:DWORD dst_unused:UNUSED_PAD src0_sel:DWORD src1_sel:WORD_1
	;; [unrolled: 1-line block ×3, first 2 shown]
	v_sub_f16_e32 v40, v40, v41
	v_sub_f16_e32 v44, v44, v38
	v_fmac_f16_e32 v35, -0.5, v58
	v_fmac_f16_e32 v102, -0.5, v53
	;; [unrolled: 1-line block ×3, first 2 shown]
	v_fma_f16 v37, v37, v28, -v45
	v_fmac_f16_e32 v52, v112, v28
	v_fma_f16 v45, v48, v29, -v109
	v_fmac_f16_e32 v110, v113, v29
	v_fmac_f16_e32 v118, v49, v24
	v_sub_f16_e32 v49, v51, v54
	v_add_f16_e32 v53, v108, v51
	v_add_f16_e32 v51, v51, v54
	ds_write2_b32 v62, v19, v55 offset1:48
	ds_write_b32 v62, v34 offset:384
	v_add_f16_e32 v19, v57, v41
	v_add_f16_e32 v34, v104, v56
	;; [unrolled: 1-line block ×3, first 2 shown]
	v_fma_f16 v32, -0.5, v107, v32
	v_add_f16_e32 v41, v116, v115
	v_fma_f16 v43, v43, v24, -v117
	v_fma_f16 v46, v46, v25, -v119
	v_fmac_f16_e32 v120, v47, v25
	v_add_f16_e32 v47, v33, v36
	v_add_f16_e32 v48, v36, v39
	v_fmamk_f16 v55, v103, 0x3aee, v35
	v_fmamk_f16 v56, v40, 0xbaee, v102
	;; [unrolled: 1-line block ×3, first 2 shown]
	v_fmac_f16_e32 v105, 0x3aee, v44
	v_fmac_f16_e32 v108, -0.5, v51
	v_add_f16_e32 v44, v37, v45
	v_add_f16_e32 v51, v52, v110
	v_fmac_f16_e32 v35, 0xbaee, v103
	v_fmac_f16_e32 v102, 0x3aee, v40
	v_sub_f16_e32 v36, v36, v39
	v_fmamk_f16 v40, v114, 0x3aee, v32
	v_pack_b32_f16 v19, v19, v34
	v_pack_b32_f16 v34, v38, v41
	v_add_f16_e32 v38, v47, v39
	v_fmac_f16_e32 v33, -0.5, v48
	v_add_f16_e32 v39, v53, v54
	v_add_f16_e32 v53, v43, v46
	;; [unrolled: 1-line block ×3, first 2 shown]
	v_fmac_f16_e32 v32, 0xbaee, v114
	v_add_f16_e32 v41, v18, v37
	v_sub_f16_e32 v47, v52, v110
	v_add_f16_e32 v48, v111, v52
	v_sub_f16_e32 v37, v37, v45
	;; [unrolled: 2-line block ×3, first 2 shown]
	v_pack_b32_f16 v43, v55, v56
	v_fmac_f16_e32 v18, -0.5, v44
	v_fmac_f16_e32 v111, -0.5, v51
	v_pack_b32_f16 v35, v35, v102
	v_sub_f16_e32 v54, v118, v120
	v_add_f16_e32 v58, v101, v118
	v_pack_b32_f16 v40, v40, v57
	v_fmamk_f16 v55, v49, 0x3aee, v33
	v_fmac_f16_e32 v33, 0xbaee, v49
	v_fmamk_f16 v49, v36, 0xbaee, v108
	v_fmac_f16_e32 v42, -0.5, v53
	v_fmac_f16_e32 v101, -0.5, v59
	v_pack_b32_f16 v32, v32, v105
	v_fmac_f16_e32 v108, 0x3aee, v36
	v_add_f16_e32 v36, v41, v45
	v_add_f16_e32 v41, v48, v110
	ds_write2_b32 v93, v19, v43 offset1:48
	ds_write_b32 v93, v35 offset:384
	ds_write_b32 v62, v34 offset:600
	;; [unrolled: 1-line block ×4, first 2 shown]
	v_fmamk_f16 v19, v47, 0x3aee, v18
	v_fmamk_f16 v32, v37, 0xbaee, v111
	v_fmac_f16_e32 v18, 0xbaee, v47
	v_fmac_f16_e32 v111, 0x3aee, v37
	v_add_f16_e32 v44, v52, v46
	v_add_f16_e32 v102, v58, v120
	v_pack_b32_f16 v38, v38, v39
	v_fmamk_f16 v45, v54, 0x3aee, v42
	v_fmac_f16_e32 v42, 0xbaee, v54
	v_fmamk_f16 v43, v103, 0xbaee, v101
	v_pack_b32_f16 v34, v55, v49
	v_fmac_f16_e32 v101, 0x3aee, v103
	v_pack_b32_f16 v33, v33, v108
	v_pack_b32_f16 v35, v36, v41
	;; [unrolled: 1-line block ×4, first 2 shown]
	ds_write2_b32 v90, v38, v34 offset1:48
	ds_write_b32 v90, v33 offset:384
	ds_write2_b32 v50, v35, v19 offset0:32 offset1:80
	ds_write_b32 v91, v18 offset:1536
	s_and_saveexec_b32 s0, vcc_lo
	s_cbranch_execz .LBB0_11
; %bb.10:
	v_lshl_add_u32 v18, v89, 2, v80
	v_perm_b32 v19, v102, v44, 0x5040100
	v_perm_b32 v32, v43, v45, 0x5040100
	;; [unrolled: 1-line block ×3, first 2 shown]
	v_add_nc_u32_e32 v33, 0x400, v18
	ds_write2_b32 v33, v19, v32 offset0:32 offset1:80
	ds_write_b32 v18, v34 offset:1536
.LBB0_11:
	s_or_b32 exec_lo, exec_lo, s0
	v_add_nc_u32_e32 v103, 0x400, v62
	s_waitcnt lgkmcnt(0)
	s_barrier
	buffer_gl0_inv
	ds_read2_b32 v[48:49], v62 offset1:27
	ds_read2_b32 v[46:47], v62 offset0:108 offset1:144
	ds_read2_b32 v[56:57], v103 offset0:32 offset1:59
	;; [unrolled: 1-line block ×6, first 2 shown]
	ds_read_b32 v104, v62 offset:1584
	s_and_saveexec_b32 s0, vcc_lo
	s_cbranch_execz .LBB0_13
; %bb.12:
	v_add_nc_u32_e32 v18, 0x200, v62
	ds_read2_b32 v[44:45], v18 offset0:7 offset1:151
	ds_read_b32 v42, v62 offset:1692
	s_waitcnt lgkmcnt(1)
	v_lshrrev_b32_e32 v102, 16, v44
	v_lshrrev_b32_e32 v43, 16, v45
	s_waitcnt lgkmcnt(0)
	v_lshrrev_b32_e32 v101, 16, v42
.LBB0_13:
	s_or_b32 exec_lo, exec_lo, s0
	v_lshlrev_b32_e32 v18, 3, v100
	v_lshlrev_b32_e32 v19, 3, v99
	global_load_dwordx2 v[34:35], v[60:61], off offset:564
	s_waitcnt lgkmcnt(5)
	v_lshrrev_b32_e32 v99, 16, v57
	s_waitcnt lgkmcnt(4)
	v_lshrrev_b32_e32 v105, 16, v59
	s_clause 0x1
	global_load_dwordx2 v[40:41], v18, s[2:3] offset:564
	global_load_dwordx2 v[38:39], v19, s[2:3] offset:564
	v_lshlrev_b32_e32 v18, 3, v98
	v_lshlrev_b32_e32 v19, 3, v97
	v_lshrrev_b32_e32 v98, 16, v58
	s_clause 0x1
	global_load_dwordx2 v[36:37], v18, s[2:3] offset:564
	global_load_dwordx2 v[32:33], v19, s[2:3] offset:564
	v_add_co_u32 v18, s0, v76, -9
	v_add_co_ci_u32_e64 v19, null, 0, -1, s0
	s_waitcnt lgkmcnt(2)
	v_lshrrev_b32_e32 v106, 16, v52
	v_cndmask_b32_e32 v18, v18, v95, vcc_lo
	v_lshrrev_b32_e32 v95, 16, v47
	v_cndmask_b32_e32 v19, v19, v96, vcc_lo
	v_lshrrev_b32_e32 v96, 16, v56
	s_waitcnt lgkmcnt(0)
	v_lshrrev_b32_e32 v112, 16, v104
	v_lshl_add_u32 v60, v94, 2, v88
	v_lshrrev_b32_e32 v61, 16, v48
	v_lshlrev_b64 v[18:19], 3, v[18:19]
	v_lshrrev_b32_e32 v108, 16, v54
	v_lshrrev_b32_e32 v109, 16, v53
	;; [unrolled: 1-line block ×5, first 2 shown]
	v_add_co_u32 v18, s0, s2, v18
	v_add_co_ci_u32_e64 v19, s0, s3, v19, s0
	v_lshrrev_b32_e32 v100, 16, v50
	v_lshrrev_b32_e32 v107, 16, v51
	v_add_nc_u32_e32 v115, 0x300, v60
	global_load_dwordx2 v[18:19], v[18:19], off offset:564
	s_waitcnt vmcnt(5)
	v_mul_f16_sdwa v88, v95, v34 dst_sel:DWORD dst_unused:UNUSED_PAD src0_sel:DWORD src1_sel:WORD_1
	v_mul_f16_sdwa v94, v47, v34 dst_sel:DWORD dst_unused:UNUSED_PAD src0_sel:DWORD src1_sel:WORD_1
	;; [unrolled: 1-line block ×4, first 2 shown]
	s_waitcnt vmcnt(3)
	v_mul_f16_sdwa v116, v105, v38 dst_sel:DWORD dst_unused:UNUSED_PAD src0_sel:DWORD src1_sel:WORD_1
	v_fma_f16 v47, v47, v34, -v88
	v_fmac_f16_e32 v94, v95, v34
	v_fma_f16 v56, v56, v35, -v113
	v_fmac_f16_e32 v114, v96, v35
	v_mul_f16_sdwa v88, v98, v40 dst_sel:DWORD dst_unused:UNUSED_PAD src0_sel:DWORD src1_sel:WORD_1
	v_mul_f16_sdwa v95, v58, v40 dst_sel:DWORD dst_unused:UNUSED_PAD src0_sel:DWORD src1_sel:WORD_1
	;; [unrolled: 1-line block ×5, first 2 shown]
	s_waitcnt vmcnt(1)
	v_mul_f16_sdwa v125, v55, v32 dst_sel:DWORD dst_unused:UNUSED_PAD src0_sel:DWORD src1_sel:WORD_1
	v_mul_f16_sdwa v126, v112, v33 dst_sel:DWORD dst_unused:UNUSED_PAD src0_sel:DWORD src1_sel:WORD_1
	;; [unrolled: 1-line block ×10, first 2 shown]
	v_fma_f16 v58, v58, v40, -v88
	v_fmac_f16_e32 v95, v98, v40
	v_fma_f16 v57, v57, v41, -v96
	v_fmac_f16_e32 v113, v99, v41
	v_fma_f16 v59, v59, v38, -v116
	v_fma_f16 v52, v52, v39, -v118
	v_fmac_f16_e32 v125, v111, v32
	v_fma_f16 v88, v104, v33, -v126
	v_fmac_f16_e32 v127, v112, v33
	v_add_f16_e32 v96, v48, v47
	v_add_f16_e32 v98, v47, v56
	v_sub_f16_e32 v99, v94, v114
	v_add_f16_e32 v104, v61, v94
	v_add_f16_e32 v94, v94, v114
	v_fmac_f16_e32 v117, v105, v38
	v_fmac_f16_e32 v119, v106, v39
	v_fma_f16 v54, v54, v36, -v120
	v_fmac_f16_e32 v121, v108, v36
	v_fma_f16 v53, v53, v37, -v122
	;; [unrolled: 2-line block ×3, first 2 shown]
	v_sub_f16_e32 v47, v47, v56
	v_add_f16_e32 v56, v96, v56
	v_fma_f16 v48, -0.5, v98, v48
	v_add_f16_e32 v96, v104, v114
	v_fmac_f16_e32 v61, -0.5, v94
	v_add_f16_e32 v94, v49, v58
	v_add_f16_e32 v105, v97, v95
	;; [unrolled: 1-line block ×4, first 2 shown]
	v_sub_f16_e32 v124, v125, v127
	v_add_f16_e32 v126, v110, v125
	v_add_f16_e32 v125, v125, v127
	;; [unrolled: 1-line block ×3, first 2 shown]
	v_sub_f16_e32 v104, v95, v113
	v_add_f16_e32 v95, v95, v113
	v_sub_f16_e32 v58, v58, v57
	v_sub_f16_e32 v109, v117, v119
	v_add_f16_e32 v111, v100, v117
	v_add_f16_e32 v112, v117, v119
	v_sub_f16_e32 v59, v59, v52
	v_add_f16_e32 v116, v54, v53
	v_sub_f16_e32 v117, v121, v123
	v_add_f16_e32 v118, v107, v121
	v_add_f16_e32 v120, v121, v123
	;; [unrolled: 1-line block ×4, first 2 shown]
	v_sub_f16_e32 v55, v55, v88
	v_fmamk_f16 v128, v99, 0x3aee, v48
	v_fmac_f16_e32 v48, 0xbaee, v99
	v_fmamk_f16 v99, v47, 0xbaee, v61
	v_fmac_f16_e32 v61, 0x3aee, v47
	v_add_f16_e32 v47, v94, v57
	v_add_f16_e32 v57, v105, v113
	;; [unrolled: 1-line block ×3, first 2 shown]
	v_fma_f16 v50, -0.5, v108, v50
	v_fmac_f16_e32 v110, -0.5, v125
	v_pack_b32_f16 v56, v56, v96
	s_waitcnt vmcnt(0)
	v_mul_f16_sdwa v96, v43, v18 dst_sel:DWORD dst_unused:UNUSED_PAD src0_sel:DWORD src1_sel:WORD_1
	v_mul_f16_sdwa v105, v45, v18 dst_sel:DWORD dst_unused:UNUSED_PAD src0_sel:DWORD src1_sel:WORD_1
	;; [unrolled: 1-line block ×4, first 2 shown]
	v_add_f16_e32 v114, v51, v54
	v_sub_f16_e32 v54, v54, v53
	v_fmac_f16_e32 v49, -0.5, v98
	v_fmac_f16_e32 v97, -0.5, v95
	;; [unrolled: 1-line block ×6, first 2 shown]
	v_fmamk_f16 v113, v55, 0xbaee, v110
	v_fmac_f16_e32 v110, 0x3aee, v55
	v_pack_b32_f16 v55, v128, v99
	v_fma_f16 v45, v45, v18, -v96
	v_fmac_f16_e32 v105, v43, v18
	v_fma_f16 v42, v42, v19, -v106
	v_fmac_f16_e32 v108, v101, v19
	v_pack_b32_f16 v48, v48, v61
	v_pack_b32_f16 v47, v47, v57
	v_add_f16_e32 v94, v111, v119
	v_add_f16_e32 v53, v114, v53
	;; [unrolled: 1-line block ×3, first 2 shown]
	v_fmamk_f16 v111, v104, 0x3aee, v49
	v_fmac_f16_e32 v49, 0xbaee, v104
	v_fmamk_f16 v104, v58, 0xbaee, v97
	v_fmac_f16_e32 v97, 0x3aee, v58
	;; [unrolled: 2-line block ×4, first 2 shown]
	v_fmamk_f16 v59, v117, 0x3aee, v51
	v_fmamk_f16 v112, v54, 0xbaee, v107
	v_fmac_f16_e32 v107, 0x3aee, v54
	v_fmamk_f16 v54, v124, 0x3aee, v46
	v_fmac_f16_e32 v46, 0xbaee, v124
	ds_write_b32 v62, v55 offset:576
	ds_write_b32 v62, v48 offset:1152
	ds_write2_b32 v62, v56, v47 offset1:27
	v_add_f16_e32 v56, v45, v42
	v_add_f16_e32 v61, v105, v108
	;; [unrolled: 1-line block ×4, first 2 shown]
	v_pack_b32_f16 v53, v53, v95
	v_pack_b32_f16 v47, v49, v97
	v_pack_b32_f16 v48, v58, v109
	v_pack_b32_f16 v49, v50, v100
	v_pack_b32_f16 v50, v59, v112
	v_pack_b32_f16 v55, v46, v110
	v_add_f16_e32 v46, v44, v45
	v_sub_f16_e32 v58, v105, v108
	v_add_f16_e32 v59, v102, v105
	v_sub_f16_e32 v95, v45, v42
	v_fmac_f16_e32 v44, -0.5, v56
	v_fmac_f16_e32 v102, -0.5, v61
	v_fmac_f16_e32 v51, 0xbaee, v117
	v_pack_b32_f16 v52, v52, v94
	v_pack_b32_f16 v57, v88, v98
	;; [unrolled: 1-line block ×3, first 2 shown]
	v_add_f16_e32 v45, v46, v42
	v_add_f16_e32 v88, v59, v108
	v_fmamk_f16 v46, v58, 0x3aee, v44
	v_fmac_f16_e32 v44, 0xbaee, v58
	v_fmamk_f16 v94, v95, 0xbaee, v102
	v_fmac_f16_e32 v102, 0x3aee, v95
	v_pack_b32_f16 v51, v51, v107
	v_pack_b32_f16 v54, v54, v113
	ds_write2_b32 v62, v43, v48 offset0:171 offset1:198
	ds_write2_b32 v103, v47, v49 offset0:59 offset1:86
	;; [unrolled: 1-line block ×3, first 2 shown]
	ds_write_b32 v62, v50 offset:900
	ds_write_b32 v62, v51 offset:1476
	;; [unrolled: 1-line block ×3, first 2 shown]
	ds_write2_b32 v115, v54, v55 offset0:60 offset1:204
	s_and_saveexec_b32 s0, vcc_lo
	s_cbranch_execz .LBB0_15
; %bb.14:
	v_perm_b32 v42, v88, v45, 0x5040100
	v_perm_b32 v43, v94, v46, 0x5040100
	v_add_nc_u32_e32 v47, 0x200, v62
	v_perm_b32 v48, v102, v44, 0x5040100
	ds_write2_b32 v47, v42, v43 offset0:7 offset1:151
	ds_write_b32 v62, v48 offset:1692
.LBB0_15:
	s_or_b32 exec_lo, exec_lo, s0
	s_waitcnt lgkmcnt(0)
	s_barrier
	buffer_gl0_inv
	global_load_dword v43, v[15:16], off offset:1728
	v_lshlrev_b32_e32 v42, 2, v76
	s_add_u32 s0, s12, 0x6c0
	s_addc_u32 s1, s13, 0
	s_clause 0xd
	global_load_dword v61, v42, s[0:1] offset:576
	global_load_dword v97, v42, s[0:1] offset:1152
	;; [unrolled: 1-line block ×14, first 2 shown]
	ds_read2_b32 v[48:49], v62 offset1:27
	ds_read2_b32 v[50:51], v62 offset0:108 offset1:144
	ds_read2_b32 v[52:53], v62 offset0:171 offset1:198
	;; [unrolled: 1-line block ×3, first 2 shown]
	v_add_nc_u32_e32 v47, 0x400, v62
	ds_read2_b32 v[56:57], v62 offset0:225 offset1:252
	ds_read_b32 v111, v62 offset:1584
	ds_read2_b32 v[58:59], v47 offset0:32 offset1:59
	ds_read2_b32 v[95:96], v47 offset0:86 offset1:113
	s_waitcnt lgkmcnt(7)
	v_lshrrev_b32_e32 v112, 16, v48
	v_lshrrev_b32_e32 v114, 16, v49
	s_waitcnt lgkmcnt(6)
	v_lshrrev_b32_e32 v113, 16, v51
	s_waitcnt lgkmcnt(5)
	v_lshrrev_b32_e32 v115, 16, v52
	v_lshrrev_b32_e32 v117, 16, v53
	s_waitcnt lgkmcnt(4)
	v_lshrrev_b32_e32 v116, 16, v54
	s_waitcnt lgkmcnt(1)
	v_lshrrev_b32_e32 v123, 16, v58
	v_lshrrev_b32_e32 v126, 16, v59
	;; [unrolled: 1-line block ×3, first 2 shown]
	s_waitcnt lgkmcnt(0)
	v_lshrrev_b32_e32 v127, 16, v95
	v_lshrrev_b32_e32 v128, 16, v96
	;; [unrolled: 1-line block ×6, first 2 shown]
	s_waitcnt vmcnt(12)
	v_mul_f16_sdwa v129, v58, v97 dst_sel:DWORD dst_unused:UNUSED_PAD src0_sel:DWORD src1_sel:WORD_1
	s_waitcnt vmcnt(11)
	v_mul_f16_sdwa v130, v114, v98 dst_sel:DWORD dst_unused:UNUSED_PAD src0_sel:DWORD src1_sel:WORD_1
	v_mul_f16_sdwa v131, v49, v98 dst_sel:DWORD dst_unused:UNUSED_PAD src0_sel:DWORD src1_sel:WORD_1
	s_waitcnt vmcnt(9)
	v_mul_f16_sdwa v134, v126, v100 dst_sel:DWORD dst_unused:UNUSED_PAD src0_sel:DWORD src1_sel:WORD_1
	v_mul_f16_sdwa v135, v59, v100 dst_sel:DWORD dst_unused:UNUSED_PAD src0_sel:DWORD src1_sel:WORD_1
	;; [unrolled: 1-line block ×6, first 2 shown]
	s_waitcnt vmcnt(7)
	v_mul_f16_sdwa v138, v117, v103 dst_sel:DWORD dst_unused:UNUSED_PAD src0_sel:DWORD src1_sel:WORD_1
	v_mul_f16_sdwa v139, v53, v103 dst_sel:DWORD dst_unused:UNUSED_PAD src0_sel:DWORD src1_sel:WORD_1
	v_fma_f16 v48, v48, v43, -v124
	v_fmac_f16_e32 v125, v112, v43
	v_mul_f16_sdwa v43, v113, v61 dst_sel:DWORD dst_unused:UNUSED_PAD src0_sel:DWORD src1_sel:WORD_1
	v_mul_f16_sdwa v124, v123, v97 dst_sel:DWORD dst_unused:UNUSED_PAD src0_sel:DWORD src1_sel:WORD_1
	;; [unrolled: 1-line block ×4, first 2 shown]
	s_waitcnt vmcnt(5)
	v_mul_f16_sdwa v142, v118, v105 dst_sel:DWORD dst_unused:UNUSED_PAD src0_sel:DWORD src1_sel:WORD_1
	v_mul_f16_sdwa v143, v55, v105 dst_sel:DWORD dst_unused:UNUSED_PAD src0_sel:DWORD src1_sel:WORD_1
	;; [unrolled: 1-line block ×5, first 2 shown]
	s_waitcnt vmcnt(3)
	v_mul_f16_sdwa v146, v128, v107 dst_sel:DWORD dst_unused:UNUSED_PAD src0_sel:DWORD src1_sel:WORD_1
	v_mul_f16_sdwa v147, v96, v107 dst_sel:DWORD dst_unused:UNUSED_PAD src0_sel:DWORD src1_sel:WORD_1
	;; [unrolled: 1-line block ×4, first 2 shown]
	s_waitcnt vmcnt(2)
	v_mul_f16_sdwa v148, v120, v108 dst_sel:DWORD dst_unused:UNUSED_PAD src0_sel:DWORD src1_sel:WORD_1
	v_mul_f16_sdwa v149, v50, v108 dst_sel:DWORD dst_unused:UNUSED_PAD src0_sel:DWORD src1_sel:WORD_1
	s_waitcnt vmcnt(1)
	v_mul_f16_sdwa v150, v121, v109 dst_sel:DWORD dst_unused:UNUSED_PAD src0_sel:DWORD src1_sel:WORD_1
	v_mul_f16_sdwa v151, v57, v109 dst_sel:DWORD dst_unused:UNUSED_PAD src0_sel:DWORD src1_sel:WORD_1
	;; [unrolled: 3-line block ×3, first 2 shown]
	v_fma_f16 v49, v49, v98, -v130
	v_fmac_f16_e32 v131, v114, v98
	v_fma_f16 v43, v51, v61, -v43
	v_fma_f16 v51, v58, v97, -v124
	v_fmac_f16_e32 v129, v123, v97
	v_fma_f16 v58, v59, v100, -v134
	v_fmac_f16_e32 v135, v126, v100
	;; [unrolled: 2-line block ×6, first 2 shown]
	v_fmac_f16_e32 v112, v113, v61
	v_fma_f16 v59, v95, v104, -v140
	v_fmac_f16_e32 v141, v127, v104
	v_fma_f16 v61, v96, v107, -v146
	v_fmac_f16_e32 v147, v128, v107
	v_pack_b32_f16 v48, v48, v125
	v_fma_f16 v56, v56, v106, -v144
	v_fmac_f16_e32 v145, v119, v106
	v_fma_f16 v50, v50, v108, -v148
	v_fmac_f16_e32 v149, v120, v108
	;; [unrolled: 2-line block ×4, first 2 shown]
	v_pack_b32_f16 v49, v49, v131
	v_pack_b32_f16 v51, v51, v129
	;; [unrolled: 1-line block ×14, first 2 shown]
	ds_write2_b32 v62, v48, v49 offset1:27
	ds_write2_b32 v47, v51, v58 offset0:32 offset1:59
	ds_write2_b32 v62, v52, v53 offset0:171 offset1:198
	;; [unrolled: 1-line block ×6, first 2 shown]
	ds_write_b32 v62, v95 offset:1584
	s_and_saveexec_b32 s2, vcc_lo
	s_cbranch_execz .LBB0_17
; %bb.16:
	v_add_co_u32 v42, s0, s0, v42
	v_add_co_ci_u32_e64 v43, null, s1, 0, s0
	v_add_nc_u32_e32 v51, 0x200, v62
	s_clause 0x2
	global_load_dword v48, v[42:43], off offset:540
	global_load_dword v49, v[42:43], off offset:1116
	;; [unrolled: 1-line block ×3, first 2 shown]
	ds_read2_b32 v[42:43], v51 offset0:7 offset1:151
	ds_read_b32 v52, v62 offset:1692
	s_waitcnt lgkmcnt(1)
	v_lshrrev_b32_e32 v53, 16, v42
	v_lshrrev_b32_e32 v54, 16, v43
	s_waitcnt lgkmcnt(0)
	v_lshrrev_b32_e32 v55, 16, v52
	s_waitcnt vmcnt(2)
	v_mul_f16_sdwa v56, v53, v48 dst_sel:DWORD dst_unused:UNUSED_PAD src0_sel:DWORD src1_sel:WORD_1
	v_mul_f16_sdwa v57, v42, v48 dst_sel:DWORD dst_unused:UNUSED_PAD src0_sel:DWORD src1_sel:WORD_1
	s_waitcnt vmcnt(1)
	v_mul_f16_sdwa v58, v54, v49 dst_sel:DWORD dst_unused:UNUSED_PAD src0_sel:DWORD src1_sel:WORD_1
	v_mul_f16_sdwa v59, v43, v49 dst_sel:DWORD dst_unused:UNUSED_PAD src0_sel:DWORD src1_sel:WORD_1
	;; [unrolled: 3-line block ×3, first 2 shown]
	v_fma_f16 v42, v42, v48, -v56
	v_fmac_f16_e32 v57, v53, v48
	v_fma_f16 v43, v43, v49, -v58
	v_fmac_f16_e32 v59, v54, v49
	;; [unrolled: 2-line block ×3, first 2 shown]
	v_pack_b32_f16 v42, v42, v57
	v_pack_b32_f16 v43, v43, v59
	;; [unrolled: 1-line block ×3, first 2 shown]
	ds_write2_b32 v51, v42, v43 offset0:7 offset1:151
	ds_write_b32 v62, v48 offset:1692
.LBB0_17:
	s_or_b32 exec_lo, exec_lo, s2
	s_waitcnt lgkmcnt(0)
	s_barrier
	buffer_gl0_inv
	ds_read2_b32 v[57:58], v62 offset1:27
	ds_read2_b32 v[42:43], v62 offset0:108 offset1:144
	ds_read2_b32 v[53:54], v47 offset0:32 offset1:59
	;; [unrolled: 1-line block ×6, first 2 shown]
	ds_read_b32 v95, v62 offset:1584
	s_and_saveexec_b32 s0, vcc_lo
	s_cbranch_execz .LBB0_19
; %bb.18:
	v_add_nc_u32_e32 v44, 0x200, v62
	ds_read2_b32 v[45:46], v44 offset0:7 offset1:151
	ds_read_b32 v44, v62 offset:1692
	s_waitcnt lgkmcnt(1)
	v_lshrrev_b32_e32 v88, 16, v45
	v_lshrrev_b32_e32 v94, 16, v46
	s_waitcnt lgkmcnt(0)
	v_lshrrev_b32_e32 v102, 16, v44
.LBB0_19:
	s_or_b32 exec_lo, exec_lo, s0
	v_add_f16_e32 v59, v46, v44
	v_sub_f16_e32 v101, v94, v102
	s_waitcnt lgkmcnt(5)
	v_pk_add_f16 v103, v43, v53
	v_pk_add_f16 v104, v43, v53 neg_lo:[0,1] neg_hi:[0,1]
	v_pk_add_f16 v96, v57, v43
	v_fma_f16 v59, -0.5, v59, v45
	s_waitcnt lgkmcnt(4)
	v_pk_add_f16 v97, v58, v55
	v_add_f16_e32 v61, v94, v102
	v_sub_f16_e32 v105, v46, v44
	s_waitcnt lgkmcnt(3)
	v_pk_add_f16 v98, v49, v56
	v_fmamk_f16 v43, v101, 0xbaee, v59
	v_fmac_f16_e32 v59, 0x3aee, v101
	v_pk_fma_f16 v101, v103, 0.5, v57 op_sel_hi:[1,0,1] neg_lo:[1,0,0] neg_hi:[1,0,0]
	v_pk_mul_f16 v103, 0x3aee, v104 op_sel_hi:[0,1]
	v_pk_add_f16 v104, v55, v54
	v_pk_add_f16 v55, v55, v54 neg_lo:[0,1] neg_hi:[0,1]
	v_fma_f16 v61, -0.5, v61, v88
	v_pk_add_f16 v53, v96, v53
	v_pk_add_f16 v54, v97, v54
	v_pk_fma_f16 v58, v104, 0.5, v58 op_sel_hi:[1,0,1] neg_lo:[1,0,0] neg_hi:[1,0,0]
	v_pk_mul_f16 v55, 0x3aee, v55 op_sel_hi:[0,1]
	v_fmamk_f16 v57, v105, 0x3aee, v61
	v_fmac_f16_e32 v61, 0xbaee, v105
	v_pk_add_f16 v105, v101, v103 op_sel:[0,1] op_sel_hi:[1,0] neg_lo:[0,1] neg_hi:[0,1]
	v_pk_add_f16 v101, v101, v103 op_sel:[0,1] op_sel_hi:[1,0]
	v_pk_add_f16 v103, v58, v55 op_sel:[0,1] op_sel_hi:[1,0] neg_lo:[0,1] neg_hi:[0,1]
	v_pk_add_f16 v55, v58, v55 op_sel:[0,1] op_sel_hi:[1,0]
	s_waitcnt lgkmcnt(2)
	v_pk_add_f16 v58, v56, v47
	v_pk_add_f16 v56, v56, v47 neg_lo:[0,1] neg_hi:[0,1]
	v_bfi_b32 v96, 0xffff, v105, v101
	v_bfi_b32 v101, 0xffff, v101, v105
	;; [unrolled: 1-line block ×3, first 2 shown]
	v_pk_fma_f16 v49, v58, 0.5, v49 op_sel_hi:[1,0,1] neg_lo:[1,0,0] neg_hi:[1,0,0]
	v_pk_mul_f16 v56, 0x3aee, v56 op_sel_hi:[0,1]
	s_waitcnt lgkmcnt(1)
	v_pk_add_f16 v99, v50, v51
	s_waitcnt lgkmcnt(0)
	s_barrier
	buffer_gl0_inv
	ds_write2_b32 v81, v53, v96 offset1:1
	ds_write_b32 v81, v101 offset:8
	ds_write2_b32 v83, v54, v97 offset1:1
	v_pk_add_f16 v53, v49, v56 op_sel:[0,1] op_sel_hi:[1,0] neg_lo:[0,1] neg_hi:[0,1]
	v_pk_add_f16 v49, v49, v56 op_sel:[0,1] op_sel_hi:[1,0]
	v_bfi_b32 v54, 0xffff, v55, v103
	v_pk_add_f16 v55, v51, v48
	v_pk_add_f16 v51, v51, v48 neg_lo:[0,1] neg_hi:[0,1]
	v_pk_add_f16 v100, v42, v52
	v_pk_add_f16 v58, v52, v95
	v_pk_add_f16 v52, v52, v95 neg_lo:[0,1] neg_hi:[0,1]
	v_pk_add_f16 v47, v98, v47
	v_bfi_b32 v56, 0xffff, v53, v49
	v_pk_fma_f16 v50, v55, 0.5, v50 op_sel_hi:[1,0,1] neg_lo:[1,0,0] neg_hi:[1,0,0]
	v_pk_mul_f16 v51, 0x3aee, v51 op_sel_hi:[0,1]
	v_pk_fma_f16 v42, v58, 0.5, v42 op_sel_hi:[1,0,1] neg_lo:[1,0,0] neg_hi:[1,0,0]
	v_pk_mul_f16 v52, 0x3aee, v52 op_sel_hi:[0,1]
	ds_write_b32 v83, v54 offset:8
	ds_write2_b32 v82, v47, v56 offset1:1
	v_pk_add_f16 v47, v50, v51 op_sel:[0,1] op_sel_hi:[1,0] neg_lo:[0,1] neg_hi:[0,1]
	v_pk_add_f16 v50, v50, v51 op_sel:[0,1] op_sel_hi:[1,0]
	v_pk_add_f16 v51, v42, v52 op_sel:[0,1] op_sel_hi:[1,0] neg_lo:[0,1] neg_hi:[0,1]
	v_pk_add_f16 v42, v42, v52 op_sel:[0,1] op_sel_hi:[1,0]
	v_bfi_b32 v49, 0xffff, v49, v53
	v_pk_add_f16 v48, v99, v48
	v_bfi_b32 v52, 0xffff, v47, v50
	v_bfi_b32 v47, 0xffff, v50, v47
	v_pk_add_f16 v50, v100, v95
	v_bfi_b32 v53, 0xffff, v51, v42
	v_bfi_b32 v42, 0xffff, v42, v51
	ds_write_b32 v82, v49 offset:8
	ds_write2_b32 v85, v48, v52 offset1:1
	ds_write_b32 v85, v47 offset:8
	ds_write2_b32 v87, v50, v53 offset1:1
	ds_write_b32 v87, v42 offset:8
	s_and_saveexec_b32 s0, vcc_lo
	s_cbranch_execz .LBB0_21
; %bb.20:
	v_add_f16_e32 v42, v94, v88
	v_add_f16_e32 v45, v46, v45
	v_perm_b32 v46, v57, v43, 0x5040100
	v_add_f16_e32 v42, v102, v42
	v_add_f16_e32 v44, v44, v45
	v_lshl_add_u32 v45, v86, 2, v80
	v_pack_b32_f16 v42, v44, v42
	v_perm_b32 v44, v61, v59, 0x5040100
	ds_write2_b32 v45, v42, v46 offset1:1
	ds_write_b32 v45, v44 offset:8
.LBB0_21:
	s_or_b32 exec_lo, exec_lo, s0
	s_waitcnt lgkmcnt(0)
	s_barrier
	buffer_gl0_inv
	ds_read2_b32 v[44:45], v62 offset1:27
	ds_read2_b32 v[46:47], v62 offset0:54 offset1:81
	ds_read2_b32 v[48:49], v62 offset0:108 offset1:135
	v_add_nc_u32_e32 v56, 0x400, v62
	ds_read2_b32 v[50:51], v62 offset0:162 offset1:189
	ds_read2_b32 v[52:53], v62 offset0:216 offset1:243
	ds_read2_b32 v[54:55], v56 offset0:14 offset1:41
	ds_read2_b32 v[81:82], v56 offset0:68 offset1:95
	ds_read2_b32 v[85:86], v56 offset0:122 offset1:149
	s_waitcnt lgkmcnt(0)
	s_barrier
	buffer_gl0_inv
	v_lshrrev_b32_e32 v58, 16, v45
	v_lshrrev_b32_e32 v83, 16, v46
	;; [unrolled: 1-line block ×4, first 2 shown]
	v_mul_f16_sdwa v106, v8, v45 dst_sel:DWORD dst_unused:UNUSED_PAD src0_sel:WORD_1 src1_sel:DWORD
	v_mul_f16_sdwa v103, v8, v58 dst_sel:DWORD dst_unused:UNUSED_PAD src0_sel:WORD_1 src1_sel:DWORD
	;; [unrolled: 1-line block ×4, first 2 shown]
	v_lshrrev_b32_e32 v94, 16, v49
	v_lshrrev_b32_e32 v95, 16, v50
	v_fmac_f16_e32 v103, v8, v45
	v_mul_f16_sdwa v45, v9, v46 dst_sel:DWORD dst_unused:UNUSED_PAD src0_sel:WORD_1 src1_sel:DWORD
	v_fmac_f16_e32 v107, v9, v46
	v_mul_f16_sdwa v46, v10, v47 dst_sel:DWORD dst_unused:UNUSED_PAD src0_sel:WORD_1 src1_sel:DWORD
	;; [unrolled: 2-line block ×3, first 2 shown]
	v_fma_f16 v9, v9, v83, -v45
	v_mul_f16_sdwa v45, v11, v88 dst_sel:DWORD dst_unused:UNUSED_PAD src0_sel:WORD_1 src1_sel:DWORD
	v_lshrrev_b32_e32 v96, 16, v51
	v_lshrrev_b32_e32 v97, 16, v52
	v_fma_f16 v8, v8, v58, -v106
	v_fma_f16 v10, v10, v87, -v46
	v_mul_f16_sdwa v46, v4, v94 dst_sel:DWORD dst_unused:UNUSED_PAD src0_sel:WORD_1 src1_sel:DWORD
	v_mul_f16_sdwa v58, v4, v49 dst_sel:DWORD dst_unused:UNUSED_PAD src0_sel:WORD_1 src1_sel:DWORD
	v_fmac_f16_e32 v45, v11, v48
	v_fma_f16 v11, v11, v88, -v47
	v_mul_f16_sdwa v47, v5, v95 dst_sel:DWORD dst_unused:UNUSED_PAD src0_sel:WORD_1 src1_sel:DWORD
	v_mul_f16_sdwa v48, v5, v50 dst_sel:DWORD dst_unused:UNUSED_PAD src0_sel:WORD_1 src1_sel:DWORD
	v_lshrrev_b32_e32 v98, 16, v53
	v_lshrrev_b32_e32 v99, 16, v54
	v_fmac_f16_e32 v46, v4, v49
	v_fma_f16 v4, v4, v94, -v58
	v_mul_f16_sdwa v49, v6, v96 dst_sel:DWORD dst_unused:UNUSED_PAD src0_sel:WORD_1 src1_sel:DWORD
	v_fmac_f16_e32 v47, v5, v50
	v_mul_f16_sdwa v50, v6, v51 dst_sel:DWORD dst_unused:UNUSED_PAD src0_sel:WORD_1 src1_sel:DWORD
	v_mul_f16_sdwa v58, v7, v97 dst_sel:DWORD dst_unused:UNUSED_PAD src0_sel:WORD_1 src1_sel:DWORD
	v_fma_f16 v5, v5, v95, -v48
	v_mul_f16_sdwa v48, v7, v52 dst_sel:DWORD dst_unused:UNUSED_PAD src0_sel:WORD_1 src1_sel:DWORD
	v_lshrrev_b32_e32 v101, 16, v81
	v_fmac_f16_e32 v49, v6, v51
	v_fma_f16 v6, v6, v96, -v50
	v_fmac_f16_e32 v58, v7, v52
	v_mul_f16_sdwa v50, v0, v98 dst_sel:DWORD dst_unused:UNUSED_PAD src0_sel:WORD_1 src1_sel:DWORD
	v_fma_f16 v7, v7, v97, -v48
	v_mul_f16_sdwa v48, v1, v99 dst_sel:DWORD dst_unused:UNUSED_PAD src0_sel:WORD_1 src1_sel:DWORD
	v_lshrrev_b32_e32 v104, 16, v85
	v_mul_f16_sdwa v51, v0, v53 dst_sel:DWORD dst_unused:UNUSED_PAD src0_sel:WORD_1 src1_sel:DWORD
	v_mul_f16_sdwa v52, v1, v54 dst_sel:DWORD dst_unused:UNUSED_PAD src0_sel:WORD_1 src1_sel:DWORD
	v_fmac_f16_e32 v50, v0, v53
	v_fmac_f16_e32 v48, v1, v54
	v_mul_f16_sdwa v53, v3, v101 dst_sel:DWORD dst_unused:UNUSED_PAD src0_sel:WORD_1 src1_sel:DWORD
	v_mul_f16_sdwa v54, v3, v81 dst_sel:DWORD dst_unused:UNUSED_PAD src0_sel:WORD_1 src1_sel:DWORD
	v_lshrrev_b32_e32 v100, 16, v55
	v_lshrrev_b32_e32 v102, 16, v82
	v_fma_f16 v0, v0, v98, -v51
	v_fmac_f16_e32 v53, v3, v81
	v_fma_f16 v3, v3, v101, -v54
	v_mul_f16_sdwa v54, v13, v104 dst_sel:DWORD dst_unused:UNUSED_PAD src0_sel:WORD_1 src1_sel:DWORD
	v_mul_f16_sdwa v81, v13, v85 dst_sel:DWORD dst_unused:UNUSED_PAD src0_sel:WORD_1 src1_sel:DWORD
	;; [unrolled: 1-line block ×3, first 2 shown]
	v_fma_f16 v1, v1, v99, -v52
	v_mul_f16_sdwa v52, v2, v55 dst_sel:DWORD dst_unused:UNUSED_PAD src0_sel:WORD_1 src1_sel:DWORD
	v_fmac_f16_e32 v54, v13, v85
	v_fma_f16 v13, v13, v104, -v81
	v_lshrrev_b32_e32 v105, 16, v86
	v_fmac_f16_e32 v51, v2, v55
	v_mul_f16_sdwa v55, v12, v102 dst_sel:DWORD dst_unused:UNUSED_PAD src0_sel:WORD_1 src1_sel:DWORD
	v_fma_f16 v2, v2, v100, -v52
	v_mul_f16_sdwa v52, v12, v82 dst_sel:DWORD dst_unused:UNUSED_PAD src0_sel:WORD_1 src1_sel:DWORD
	v_sub_f16_e32 v58, v44, v58
	v_sub_f16_e32 v53, v45, v53
	;; [unrolled: 1-line block ×6, first 2 shown]
	v_lshrrev_b32_e32 v42, 16, v44
	v_fmac_f16_e32 v55, v12, v82
	v_fma_f16 v12, v12, v102, -v52
	v_mul_f16_sdwa v52, v14, v105 dst_sel:DWORD dst_unused:UNUSED_PAD src0_sel:WORD_1 src1_sel:DWORD
	v_mul_f16_sdwa v82, v14, v86 dst_sel:DWORD dst_unused:UNUSED_PAD src0_sel:WORD_1 src1_sel:DWORD
	v_fma_f16 v44, v44, 2.0, -v58
	v_fma_f16 v45, v45, 2.0, -v53
	v_sub_f16_e32 v1, v9, v1
	v_fma_f16 v11, v11, 2.0, -v3
	v_fma_f16 v81, v107, 2.0, -v48
	;; [unrolled: 1-line block ×4, first 2 shown]
	v_add_f16_e32 v3, v58, v3
	v_add_f16_e32 v13, v48, v13
	v_fmac_f16_e32 v52, v14, v86
	v_fma_f16 v14, v14, v105, -v82
	v_sub_f16_e32 v7, v42, v7
	v_sub_f16_e32 v45, v44, v45
	;; [unrolled: 1-line block ×3, first 2 shown]
	v_fma_f16 v58, v58, 2.0, -v3
	v_sub_f16_e32 v54, v1, v54
	v_fma_f16 v48, v48, 2.0, -v13
	v_fma_f16 v9, v9, 2.0, -v1
	v_sub_f16_e32 v50, v103, v50
	v_sub_f16_e32 v55, v46, v55
	;; [unrolled: 1-line block ×8, first 2 shown]
	v_fma_f16 v44, v44, 2.0, -v45
	v_fma_f16 v81, v81, 2.0, -v47
	;; [unrolled: 1-line block ×3, first 2 shown]
	v_fmamk_f16 v85, v48, 0xb9a8, v58
	v_fma_f16 v42, v42, 2.0, -v7
	v_sub_f16_e32 v0, v8, v0
	v_fma_f16 v82, v103, 2.0, -v50
	v_fma_f16 v46, v46, 2.0, -v55
	;; [unrolled: 1-line block ×7, first 2 shown]
	v_add_f16_e32 v12, v50, v12
	v_add_f16_e32 v14, v51, v14
	v_sub_f16_e32 v52, v2, v52
	v_sub_f16_e32 v81, v44, v81
	v_fmac_f16_e32 v85, 0x39a8, v1
	v_fma_f16 v10, v10, 2.0, -v2
	v_sub_f16_e32 v46, v82, v46
	v_sub_f16_e32 v55, v0, v55
	v_sub_f16_e32 v49, v83, v49
	v_fma_f16 v50, v50, 2.0, -v12
	v_fma_f16 v51, v51, 2.0, -v14
	v_fmamk_f16 v86, v1, 0xb9a8, v7
	v_fma_f16 v1, v2, 2.0, -v52
	v_fma_f16 v2, v44, 2.0, -v81
	;; [unrolled: 1-line block ×3, first 2 shown]
	v_fmamk_f16 v58, v54, 0x39a8, v53
	v_fma_f16 v8, v8, 2.0, -v0
	v_fma_f16 v82, v82, 2.0, -v46
	v_fma_f16 v0, v0, 2.0, -v55
	v_fma_f16 v83, v83, 2.0, -v49
	v_fmac_f16_e32 v86, 0xb9a8, v48
	v_fmamk_f16 v48, v13, 0x39a8, v3
	v_fmac_f16_e32 v58, 0xb9a8, v13
	v_fmamk_f16 v13, v51, 0xb9a8, v50
	v_sub_f16_e32 v5, v9, v5
	v_sub_f16_e32 v6, v10, v6
	v_fmac_f16_e32 v48, 0x39a8, v54
	v_sub_f16_e32 v54, v82, v83
	v_fmamk_f16 v83, v1, 0xb9a8, v0
	v_fmac_f16_e32 v13, 0x39a8, v1
	v_sub_f16_e32 v11, v42, v11
	v_fma_f16 v9, v9, 2.0, -v5
	v_sub_f16_e32 v4, v8, v4
	v_fma_f16 v10, v10, 2.0, -v6
	v_add_f16_e32 v5, v45, v5
	v_fma_f16 v1, v53, 2.0, -v58
	v_fma_f16 v53, v82, 2.0, -v54
	v_fmac_f16_e32 v83, 0xb9a8, v51
	v_fma_f16 v50, v50, 2.0, -v13
	v_fmamk_f16 v51, v14, 0x39a8, v12
	v_add_f16_e32 v6, v46, v6
	v_fmamk_f16 v82, v52, 0x39a8, v55
	v_fma_f16 v42, v42, 2.0, -v11
	v_fma_f16 v8, v8, 2.0, -v4
	v_sub_f16_e32 v47, v11, v47
	v_fma_f16 v7, v7, 2.0, -v86
	v_fma_f16 v45, v45, 2.0, -v5
	v_sub_f16_e32 v49, v4, v49
	v_fma_f16 v0, v0, 2.0, -v83
	v_fmac_f16_e32 v51, 0x39a8, v52
	v_fma_f16 v46, v46, 2.0, -v6
	v_fmac_f16_e32 v82, 0xb9a8, v14
	v_sub_f16_e32 v52, v2, v53
	v_fmamk_f16 v53, v50, 0xbb64, v44
	v_sub_f16_e32 v9, v42, v9
	v_fma_f16 v11, v11, 2.0, -v47
	v_sub_f16_e32 v10, v8, v10
	v_fma_f16 v4, v4, 2.0, -v49
	v_fma_f16 v14, v55, 2.0, -v82
	v_fmamk_f16 v55, v0, 0xbb64, v7
	v_fmac_f16_e32 v53, 0x361f, v0
	v_fmamk_f16 v0, v46, 0xb9a8, v45
	v_fma_f16 v42, v42, 2.0, -v9
	v_fma_f16 v3, v3, 2.0, -v48
	;; [unrolled: 1-line block ×4, first 2 shown]
	v_fmamk_f16 v88, v4, 0xb9a8, v11
	v_fmac_f16_e32 v0, 0x39a8, v4
	v_fmamk_f16 v4, v14, 0xb61f, v1
	v_sub_f16_e32 v8, v42, v8
	v_fmac_f16_e32 v55, 0xb61f, v50
	v_fmamk_f16 v50, v12, 0xb61f, v3
	v_fmac_f16_e32 v88, 0xb9a8, v46
	v_fmac_f16_e32 v4, 0xbb64, v12
	v_sub_f16_e32 v12, v9, v54
	v_fmamk_f16 v46, v13, 0x361f, v85
	v_fmamk_f16 v54, v83, 0x361f, v86
	v_fma_f16 v87, v42, 2.0, -v8
	v_fmac_f16_e32 v50, 0x3b64, v14
	v_fmamk_f16 v42, v51, 0x3b64, v48
	v_fmac_f16_e32 v46, 0x3b64, v83
	v_fmac_f16_e32 v54, 0xbb64, v13
	v_fmamk_f16 v13, v6, 0x39a8, v5
	v_fmamk_f16 v83, v49, 0x39a8, v47
	;; [unrolled: 1-line block ×3, first 2 shown]
	v_add_f16_e32 v10, v81, v10
	v_fma_f16 v2, v2, 2.0, -v52
	v_fma_f16 v44, v44, 2.0, -v53
	;; [unrolled: 1-line block ×3, first 2 shown]
	v_fmac_f16_e32 v13, 0x39a8, v49
	v_fmac_f16_e32 v83, 0xb9a8, v6
	;; [unrolled: 1-line block ×4, first 2 shown]
	v_fma_f16 v45, v45, 2.0, -v0
	v_fma_f16 v11, v11, 2.0, -v88
	;; [unrolled: 1-line block ×12, first 2 shown]
	v_pack_b32_f16 v2, v2, v87
	v_pack_b32_f16 v7, v44, v7
	;; [unrolled: 1-line block ×6, first 2 shown]
	ds_write2_b32 v84, v2, v7 offset1:3
	ds_write2_b32 v84, v11, v1 offset0:6 offset1:9
	ds_write2_b32 v84, v3, v6 offset0:12 offset1:15
	v_pack_b32_f16 v1, v5, v47
	v_pack_b32_f16 v2, v48, v49
	v_pack_b32_f16 v3, v52, v8
	v_pack_b32_f16 v5, v53, v55
	v_pack_b32_f16 v0, v0, v88
	v_pack_b32_f16 v4, v50, v4
	v_pack_b32_f16 v6, v10, v12
	v_pack_b32_f16 v7, v46, v54
	v_pack_b32_f16 v8, v13, v83
	v_pack_b32_f16 v9, v42, v14
	ds_write2_b32 v84, v1, v2 offset0:18 offset1:21
	ds_write2_b32 v84, v3, v5 offset0:24 offset1:27
	;; [unrolled: 1-line block ×5, first 2 shown]
	s_waitcnt lgkmcnt(0)
	s_barrier
	buffer_gl0_inv
	ds_read2_b32 v[6:7], v62 offset1:27
	ds_read2_b32 v[2:3], v62 offset0:108 offset1:144
	ds_read2_b32 v[12:13], v56 offset0:32 offset1:59
	;; [unrolled: 1-line block ×6, first 2 shown]
	ds_read_b32 v44, v62 offset:1584
	s_and_saveexec_b32 s0, vcc_lo
	s_cbranch_execz .LBB0_23
; %bb.22:
	v_add_nc_u32_e32 v14, 0x200, v62
	ds_read2_b32 v[42:43], v14 offset0:7 offset1:151
	ds_read_b32 v59, v62 offset:1692
	s_waitcnt lgkmcnt(1)
	v_lshrrev_b32_e32 v14, 16, v42
	v_lshrrev_b32_e32 v57, 16, v43
	s_waitcnt lgkmcnt(0)
	v_lshrrev_b32_e32 v61, 16, v59
.LBB0_23:
	s_or_b32 exec_lo, exec_lo, s0
	s_waitcnt lgkmcnt(6)
	v_lshrrev_b32_e32 v46, 16, v3
	s_waitcnt lgkmcnt(5)
	v_lshrrev_b32_e32 v47, 16, v12
	;; [unrolled: 2-line block ×3, first 2 shown]
	v_mul_f16_sdwa v83, v20, v3 dst_sel:DWORD dst_unused:UNUSED_PAD src0_sel:WORD_1 src1_sel:DWORD
	v_lshrrev_b32_e32 v50, 16, v13
	v_mul_f16_sdwa v81, v20, v46 dst_sel:DWORD dst_unused:UNUSED_PAD src0_sel:WORD_1 src1_sel:DWORD
	v_mul_f16_sdwa v85, v21, v47 dst_sel:DWORD dst_unused:UNUSED_PAD src0_sel:WORD_1 src1_sel:DWORD
	v_lshrrev_b32_e32 v52, 16, v11
	s_waitcnt lgkmcnt(2)
	v_lshrrev_b32_e32 v53, 16, v8
	s_waitcnt lgkmcnt(1)
	v_lshrrev_b32_e32 v55, 16, v0
	v_fmac_f16_e32 v81, v20, v3
	v_mul_f16_sdwa v3, v21, v12 dst_sel:DWORD dst_unused:UNUSED_PAD src0_sel:WORD_1 src1_sel:DWORD
	v_fma_f16 v20, v20, v46, -v83
	v_mul_f16_sdwa v46, v26, v49 dst_sel:DWORD dst_unused:UNUSED_PAD src0_sel:WORD_1 src1_sel:DWORD
	v_fmac_f16_e32 v85, v21, v12
	v_mul_f16_sdwa v12, v26, v10 dst_sel:DWORD dst_unused:UNUSED_PAD src0_sel:WORD_1 src1_sel:DWORD
	v_fma_f16 v3, v21, v47, -v3
	v_mul_f16_sdwa v21, v27, v50 dst_sel:DWORD dst_unused:UNUSED_PAD src0_sel:WORD_1 src1_sel:DWORD
	;; [unrolled: 4-line block ×3, first 2 shown]
	v_lshrrev_b32_e32 v56, 16, v9
	v_fmac_f16_e32 v21, v27, v13
	v_mul_f16_sdwa v13, v22, v11 dst_sel:DWORD dst_unused:UNUSED_PAD src0_sel:WORD_1 src1_sel:DWORD
	v_fma_f16 v10, v27, v50, -v10
	v_mul_f16_sdwa v27, v23, v53 dst_sel:DWORD dst_unused:UNUSED_PAD src0_sel:WORD_1 src1_sel:DWORD
	v_fmac_f16_e32 v26, v22, v11
	v_mul_f16_sdwa v11, v23, v8 dst_sel:DWORD dst_unused:UNUSED_PAD src0_sel:WORD_1 src1_sel:DWORD
	v_lshrrev_b32_e32 v82, 16, v1
	v_fma_f16 v13, v22, v52, -v13
	v_mul_f16_sdwa v22, v30, v55 dst_sel:DWORD dst_unused:UNUSED_PAD src0_sel:WORD_1 src1_sel:DWORD
	v_fmac_f16_e32 v27, v23, v8
	v_mul_f16_sdwa v8, v30, v0 dst_sel:DWORD dst_unused:UNUSED_PAD src0_sel:WORD_1 src1_sel:DWORD
	v_fma_f16 v11, v23, v53, -v11
	v_mul_f16_sdwa v23, v31, v56 dst_sel:DWORD dst_unused:UNUSED_PAD src0_sel:WORD_1 src1_sel:DWORD
	s_waitcnt lgkmcnt(0)
	v_lshrrev_b32_e32 v84, 16, v44
	v_fmac_f16_e32 v22, v30, v0
	v_mul_f16_sdwa v0, v31, v9 dst_sel:DWORD dst_unused:UNUSED_PAD src0_sel:WORD_1 src1_sel:DWORD
	v_fma_f16 v8, v30, v55, -v8
	v_mul_f16_sdwa v30, v28, v82 dst_sel:DWORD dst_unused:UNUSED_PAD src0_sel:WORD_1 src1_sel:DWORD
	v_fmac_f16_e32 v23, v31, v9
	v_mul_f16_sdwa v9, v28, v1 dst_sel:DWORD dst_unused:UNUSED_PAD src0_sel:WORD_1 src1_sel:DWORD
	v_fma_f16 v0, v31, v56, -v0
	v_mul_f16_sdwa v31, v29, v84 dst_sel:DWORD dst_unused:UNUSED_PAD src0_sel:WORD_1 src1_sel:DWORD
	;; [unrolled: 4-line block ×4, first 2 shown]
	v_fmac_f16_e32 v28, v24, v43
	v_mul_f16_sdwa v43, v25, v59 dst_sel:DWORD dst_unused:UNUSED_PAD src0_sel:WORD_1 src1_sel:DWORD
	v_lshrrev_b32_e32 v45, 16, v6
	v_fma_f16 v24, v24, v57, -v44
	v_add_f16_e32 v44, v81, v85
	v_fmac_f16_e32 v29, v25, v59
	v_fma_f16 v25, v25, v61, -v43
	v_add_f16_e32 v43, v20, v3
	v_add_f16_e32 v47, v6, v81
	v_fma_f16 v6, -0.5, v44, v6
	v_sub_f16_e32 v44, v20, v3
	v_add_f16_e32 v20, v45, v20
	v_fmac_f16_e32 v45, -0.5, v43
	v_sub_f16_e32 v43, v81, v85
	v_lshrrev_b32_e32 v48, 16, v7
	v_fmamk_f16 v49, v44, 0xbaee, v6
	v_fmac_f16_e32 v6, 0x3aee, v44
	v_add_f16_e32 v3, v20, v3
	v_add_f16_e32 v20, v46, v21
	v_fmamk_f16 v44, v43, 0x3aee, v45
	v_add_f16_e32 v50, v7, v46
	v_fmac_f16_e32 v45, 0xbaee, v43
	v_add_f16_e32 v43, v12, v10
	v_fmac_f16_e32 v7, -0.5, v20
	v_sub_f16_e32 v20, v12, v10
	v_add_f16_e32 v50, v50, v21
	v_add_f16_e32 v12, v48, v12
	v_fmac_f16_e32 v48, -0.5, v43
	v_sub_f16_e32 v21, v46, v21
	v_lshrrev_b32_e32 v51, 16, v4
	v_fmamk_f16 v43, v20, 0xbaee, v7
	v_fmac_f16_e32 v7, 0x3aee, v20
	v_add_f16_e32 v10, v12, v10
	v_add_f16_e32 v12, v26, v27
	v_fmamk_f16 v20, v21, 0x3aee, v48
	v_fmac_f16_e32 v48, 0xbaee, v21
	v_add_f16_e32 v21, v13, v11
	v_add_f16_e32 v46, v4, v26
	v_fma_f16 v4, -0.5, v12, v4
	v_sub_f16_e32 v12, v13, v11
	v_add_f16_e32 v13, v51, v13
	v_fmac_f16_e32 v51, -0.5, v21
	v_sub_f16_e32 v21, v26, v27
	v_lshrrev_b32_e32 v54, 16, v5
	v_fmamk_f16 v26, v12, 0xbaee, v4
	v_fmac_f16_e32 v4, 0x3aee, v12
	v_add_f16_e32 v11, v13, v11
	v_add_f16_e32 v12, v22, v23
	v_fmamk_f16 v13, v21, 0x3aee, v51
	v_fmac_f16_e32 v51, 0xbaee, v21
	v_add_f16_e32 v21, v8, v0
	v_add_f16_e32 v46, v46, v27
	;; [unrolled: 1-line block ×3, first 2 shown]
	v_fmac_f16_e32 v5, -0.5, v12
	v_sub_f16_e32 v12, v8, v0
	v_add_f16_e32 v8, v54, v8
	v_fmac_f16_e32 v54, -0.5, v21
	v_sub_f16_e32 v21, v22, v23
	v_lshrrev_b32_e32 v58, 16, v2
	v_fmamk_f16 v52, v12, 0xbaee, v5
	v_fmac_f16_e32 v5, 0x3aee, v12
	v_add_f16_e32 v8, v8, v0
	v_add_f16_e32 v0, v30, v31
	v_fmamk_f16 v12, v21, 0x3aee, v54
	v_fmac_f16_e32 v54, 0xbaee, v21
	v_add_f16_e32 v21, v9, v1
	v_add_f16_e32 v22, v2, v30
	v_fmac_f16_e32 v2, -0.5, v0
	v_sub_f16_e32 v0, v9, v1
	v_add_f16_e32 v9, v58, v9
	v_fmac_f16_e32 v58, -0.5, v21
	v_sub_f16_e32 v21, v30, v31
	v_add_f16_e32 v47, v47, v85
	v_add_f16_e32 v53, v22, v31
	v_fmamk_f16 v30, v0, 0xbaee, v2
	v_fmac_f16_e32 v2, 0x3aee, v0
	v_add_f16_e32 v0, v28, v29
	v_fmamk_f16 v31, v21, 0x3aee, v58
	v_fmac_f16_e32 v58, 0xbaee, v21
	v_add_f16_e32 v21, v28, v42
	v_add_f16_e32 v9, v9, v1
	;; [unrolled: 1-line block ×3, first 2 shown]
	v_fmac_f16_e32 v42, -0.5, v0
	v_pack_b32_f16 v3, v47, v3
	v_add_f16_e32 v0, v21, v29
	v_pack_b32_f16 v21, v49, v44
	v_add_f16_e32 v27, v27, v23
	v_sub_f16_e32 v22, v24, v25
	v_add_f16_e32 v23, v24, v14
	v_fmac_f16_e32 v14, -0.5, v1
	v_sub_f16_e32 v24, v28, v29
	s_barrier
	buffer_gl0_inv
	ds_write2_b32 v62, v3, v21 offset1:48
	v_pack_b32_f16 v3, v6, v45
	v_pack_b32_f16 v6, v50, v10
	;; [unrolled: 1-line block ×6, first 2 shown]
	v_fmamk_f16 v1, v22, 0xbaee, v42
	v_fmac_f16_e32 v42, 0x3aee, v22
	v_add_f16_e32 v22, v25, v23
	v_fmamk_f16 v23, v24, 0x3aee, v14
	v_fmac_f16_e32 v14, 0xbaee, v24
	ds_write_b32 v62, v3 offset:384
	ds_write2_b32 v93, v6, v10 offset1:48
	ds_write_b32 v93, v7 offset:384
	ds_write_b32 v62, v11 offset:600
	;; [unrolled: 1-line block ×3, first 2 shown]
	v_pack_b32_f16 v3, v4, v51
	v_pack_b32_f16 v4, v27, v8
	;; [unrolled: 1-line block ×6, first 2 shown]
	v_add_nc_u32_e32 v9, 0x400, v91
	v_pack_b32_f16 v2, v2, v58
	ds_write_b32 v62, v3 offset:984
	ds_write2_b32 v90, v4, v6 offset1:48
	ds_write_b32 v90, v5 offset:384
	ds_write2_b32 v9, v7, v8 offset0:32 offset1:80
	ds_write_b32 v91, v2 offset:1536
	s_and_saveexec_b32 s0, vcc_lo
	s_cbranch_execz .LBB0_25
; %bb.24:
	v_lshl_add_u32 v2, v89, 2, v80
	v_perm_b32 v3, v22, v0, 0x5040100
	v_perm_b32 v4, v23, v1, 0x5040100
	;; [unrolled: 1-line block ×3, first 2 shown]
	v_add_nc_u32_e32 v5, 0x400, v2
	ds_write2_b32 v5, v3, v4 offset0:32 offset1:80
	ds_write_b32 v2, v6 offset:1536
.LBB0_25:
	s_or_b32 exec_lo, exec_lo, s0
	v_add_nc_u32_e32 v24, 0x400, v62
	s_waitcnt lgkmcnt(0)
	s_barrier
	buffer_gl0_inv
	ds_read2_b32 v[6:7], v62 offset1:27
	ds_read2_b32 v[2:3], v62 offset0:108 offset1:144
	ds_read2_b32 v[20:21], v24 offset0:32 offset1:59
	;; [unrolled: 1-line block ×6, first 2 shown]
	ds_read_b32 v26, v62 offset:1584
	v_add_nc_u32_e32 v25, 0x1b0, v60
	s_and_saveexec_b32 s0, vcc_lo
	s_cbranch_execz .LBB0_27
; %bb.26:
	v_add_nc_u32_e32 v0, 0x200, v62
	ds_read2_b32 v[0:1], v0 offset0:7 offset1:151
	ds_read_b32 v42, v62 offset:1692
	s_waitcnt lgkmcnt(1)
	v_lshrrev_b32_e32 v22, 16, v0
	v_lshrrev_b32_e32 v23, 16, v1
	s_waitcnt lgkmcnt(0)
	v_lshrrev_b32_e32 v14, 16, v42
.LBB0_27:
	s_or_b32 exec_lo, exec_lo, s0
	s_waitcnt lgkmcnt(6)
	v_lshrrev_b32_e32 v28, 16, v3
	s_waitcnt lgkmcnt(5)
	v_lshrrev_b32_e32 v29, 16, v20
	;; [unrolled: 2-line block ×3, first 2 shown]
	v_lshrrev_b32_e32 v43, 16, v21
	v_mul_f16_sdwa v53, v34, v3 dst_sel:DWORD dst_unused:UNUSED_PAD src0_sel:WORD_1 src1_sel:DWORD
	v_mul_f16_sdwa v51, v34, v28 dst_sel:DWORD dst_unused:UNUSED_PAD src0_sel:WORD_1 src1_sel:DWORD
	;; [unrolled: 1-line block ×3, first 2 shown]
	v_lshrrev_b32_e32 v45, 16, v13
	s_waitcnt lgkmcnt(2)
	v_lshrrev_b32_e32 v46, 16, v10
	v_fma_f16 v28, v34, v28, -v53
	v_fmac_f16_e32 v51, v34, v3
	v_mul_f16_sdwa v3, v35, v20 dst_sel:DWORD dst_unused:UNUSED_PAD src0_sel:WORD_1 src1_sel:DWORD
	v_fmac_f16_e32 v55, v35, v20
	v_mul_f16_sdwa v20, v40, v12 dst_sel:DWORD dst_unused:UNUSED_PAD src0_sel:WORD_1 src1_sel:DWORD
	v_mul_f16_sdwa v34, v40, v31 dst_sel:DWORD dst_unused:UNUSED_PAD src0_sel:WORD_1 src1_sel:DWORD
	s_waitcnt lgkmcnt(1)
	v_lshrrev_b32_e32 v48, 16, v8
	v_fma_f16 v3, v35, v29, -v3
	v_mul_f16_sdwa v29, v41, v43 dst_sel:DWORD dst_unused:UNUSED_PAD src0_sel:WORD_1 src1_sel:DWORD
	v_fma_f16 v20, v40, v31, -v20
	v_mul_f16_sdwa v31, v38, v45 dst_sel:DWORD dst_unused:UNUSED_PAD src0_sel:WORD_1 src1_sel:DWORD
	v_fmac_f16_e32 v34, v40, v12
	v_mul_f16_sdwa v12, v41, v21 dst_sel:DWORD dst_unused:UNUSED_PAD src0_sel:WORD_1 src1_sel:DWORD
	v_fmac_f16_e32 v29, v41, v21
	v_mul_f16_sdwa v21, v38, v13 dst_sel:DWORD dst_unused:UNUSED_PAD src0_sel:WORD_1 src1_sel:DWORD
	v_mul_f16_sdwa v35, v39, v46 dst_sel:DWORD dst_unused:UNUSED_PAD src0_sel:WORD_1 src1_sel:DWORD
	v_lshrrev_b32_e32 v49, 16, v11
	v_fmac_f16_e32 v31, v38, v13
	v_mul_f16_sdwa v13, v39, v10 dst_sel:DWORD dst_unused:UNUSED_PAD src0_sel:WORD_1 src1_sel:DWORD
	v_lshrrev_b32_e32 v52, 16, v9
	v_fma_f16 v21, v38, v45, -v21
	v_mul_f16_sdwa v38, v36, v48 dst_sel:DWORD dst_unused:UNUSED_PAD src0_sel:WORD_1 src1_sel:DWORD
	v_fmac_f16_e32 v35, v39, v10
	v_mul_f16_sdwa v10, v36, v8 dst_sel:DWORD dst_unused:UNUSED_PAD src0_sel:WORD_1 src1_sel:DWORD
	v_fma_f16 v13, v39, v46, -v13
	v_mul_f16_sdwa v39, v37, v49 dst_sel:DWORD dst_unused:UNUSED_PAD src0_sel:WORD_1 src1_sel:DWORD
	s_waitcnt lgkmcnt(0)
	v_lshrrev_b32_e32 v54, 16, v26
	v_fmac_f16_e32 v38, v36, v8
	v_mul_f16_sdwa v8, v37, v11 dst_sel:DWORD dst_unused:UNUSED_PAD src0_sel:WORD_1 src1_sel:DWORD
	v_fma_f16 v10, v36, v48, -v10
	v_mul_f16_sdwa v36, v32, v52 dst_sel:DWORD dst_unused:UNUSED_PAD src0_sel:WORD_1 src1_sel:DWORD
	v_fmac_f16_e32 v39, v37, v11
	v_mul_f16_sdwa v11, v32, v9 dst_sel:DWORD dst_unused:UNUSED_PAD src0_sel:WORD_1 src1_sel:DWORD
	v_fma_f16 v8, v37, v49, -v8
	v_mul_f16_sdwa v37, v33, v54 dst_sel:DWORD dst_unused:UNUSED_PAD src0_sel:WORD_1 src1_sel:DWORD
	v_fmac_f16_e32 v36, v32, v9
	v_mul_f16_sdwa v9, v33, v26 dst_sel:DWORD dst_unused:UNUSED_PAD src0_sel:WORD_1 src1_sel:DWORD
	v_lshrrev_b32_e32 v27, 16, v6
	v_fma_f16 v11, v32, v52, -v11
	v_add_f16_e32 v32, v51, v55
	v_fmac_f16_e32 v37, v33, v26
	v_fma_f16 v9, v33, v54, -v9
	v_add_f16_e32 v33, v28, v3
	v_add_f16_e32 v26, v6, v51
	v_fma_f16 v6, -0.5, v32, v6
	v_sub_f16_e32 v32, v28, v3
	v_add_f16_e32 v28, v27, v28
	v_fma_f16 v12, v41, v43, -v12
	v_fmac_f16_e32 v27, -0.5, v33
	v_sub_f16_e32 v33, v51, v55
	v_lshrrev_b32_e32 v30, 16, v7
	v_add_f16_e32 v3, v28, v3
	v_add_f16_e32 v28, v34, v29
	v_fmamk_f16 v40, v32, 0xbaee, v6
	v_fmac_f16_e32 v6, 0x3aee, v32
	v_fmamk_f16 v32, v33, 0x3aee, v27
	v_add_f16_e32 v41, v7, v34
	v_fmac_f16_e32 v27, 0xbaee, v33
	v_add_f16_e32 v33, v20, v12
	v_fmac_f16_e32 v7, -0.5, v28
	v_sub_f16_e32 v28, v20, v12
	v_add_f16_e32 v20, v30, v20
	v_add_f16_e32 v41, v41, v29
	v_fmac_f16_e32 v30, -0.5, v33
	v_sub_f16_e32 v29, v34, v29
	v_lshrrev_b32_e32 v44, 16, v4
	v_add_f16_e32 v12, v20, v12
	v_add_f16_e32 v20, v31, v35
	v_fmamk_f16 v33, v28, 0xbaee, v7
	v_fmac_f16_e32 v7, 0x3aee, v28
	v_fmamk_f16 v28, v29, 0x3aee, v30
	v_fmac_f16_e32 v30, 0xbaee, v29
	v_add_f16_e32 v29, v21, v13
	v_add_f16_e32 v34, v4, v31
	v_fma_f16 v4, -0.5, v20, v4
	v_sub_f16_e32 v20, v21, v13
	v_add_f16_e32 v21, v44, v21
	v_fmac_f16_e32 v44, -0.5, v29
	v_sub_f16_e32 v29, v31, v35
	v_lshrrev_b32_e32 v47, 16, v5
	v_fmamk_f16 v31, v20, 0xbaee, v4
	v_fmac_f16_e32 v4, 0x3aee, v20
	v_add_f16_e32 v20, v38, v39
	v_add_f16_e32 v13, v21, v13
	v_fmamk_f16 v21, v29, 0x3aee, v44
	v_fmac_f16_e32 v44, 0xbaee, v29
	v_add_f16_e32 v29, v10, v8
	v_add_f16_e32 v34, v34, v35
	;; [unrolled: 1-line block ×3, first 2 shown]
	v_fmac_f16_e32 v5, -0.5, v20
	v_sub_f16_e32 v20, v10, v8
	v_add_f16_e32 v10, v47, v10
	v_fmac_f16_e32 v47, -0.5, v29
	v_sub_f16_e32 v29, v38, v39
	v_lshrrev_b32_e32 v50, 16, v2
	v_fmamk_f16 v38, v20, 0xbaee, v5
	v_add_f16_e32 v8, v10, v8
	v_add_f16_e32 v10, v36, v37
	v_fmac_f16_e32 v5, 0x3aee, v20
	v_fmamk_f16 v20, v29, 0x3aee, v47
	v_fmac_f16_e32 v47, 0xbaee, v29
	v_add_f16_e32 v29, v11, v9
	v_add_f16_e32 v26, v26, v55
	v_add_f16_e32 v35, v35, v39
	v_add_f16_e32 v39, v2, v36
	v_fmac_f16_e32 v2, -0.5, v10
	v_sub_f16_e32 v10, v11, v9
	v_add_f16_e32 v11, v50, v11
	v_fmac_f16_e32 v50, -0.5, v29
	v_sub_f16_e32 v29, v36, v37
	v_pack_b32_f16 v3, v26, v3
	v_pack_b32_f16 v12, v41, v12
	;; [unrolled: 1-line block ×6, first 2 shown]
	v_add_f16_e32 v36, v39, v37
	v_add_f16_e32 v9, v11, v9
	v_fmamk_f16 v37, v10, 0xbaee, v2
	v_fmac_f16_e32 v2, 0x3aee, v10
	v_fmamk_f16 v10, v29, 0x3aee, v50
	v_fmac_f16_e32 v50, 0xbaee, v29
	ds_write2_b32 v62, v3, v12 offset1:27
	v_pack_b32_f16 v12, v34, v13
	ds_write2_b32 v62, v26, v21 offset0:171 offset1:198
	ds_write2_b32 v24, v7, v4 offset0:59 offset1:86
	v_pack_b32_f16 v4, v35, v8
	v_add_nc_u32_e32 v3, 0x200, v62
	v_pack_b32_f16 v6, v6, v27
	v_pack_b32_f16 v7, v38, v20
	;; [unrolled: 1-line block ×7, first 2 shown]
	v_add_nc_u32_e32 v10, 0x200, v25
	ds_write2_b32 v62, v12, v4 offset0:54 offset1:81
	ds_write2_b32 v3, v7, v6 offset0:97 offset1:160
	ds_write_b32 v62, v5 offset:1476
	ds_write2_b32 v62, v8, v11 offset0:108 offset1:144
	ds_write2_b32 v10, v9, v2 offset0:16 offset1:160
	s_and_saveexec_b32 s0, vcc_lo
	s_cbranch_execz .LBB0_29
; %bb.28:
	v_mul_f16_sdwa v2, v19, v42 dst_sel:DWORD dst_unused:UNUSED_PAD src0_sel:WORD_1 src1_sel:DWORD
	v_mul_f16_sdwa v4, v18, v1 dst_sel:DWORD dst_unused:UNUSED_PAD src0_sel:WORD_1 src1_sel:DWORD
	;; [unrolled: 1-line block ×4, first 2 shown]
	v_fma_f16 v2, v19, v14, -v2
	v_fma_f16 v4, v18, v23, -v4
	v_fmac_f16_e32 v5, v18, v1
	v_fmac_f16_e32 v6, v19, v42
	v_add_f16_e32 v1, v4, v2
	v_add_f16_e32 v7, v4, v22
	;; [unrolled: 1-line block ×4, first 2 shown]
	v_sub_f16_e32 v5, v5, v6
	v_fmac_f16_e32 v22, -0.5, v1
	v_sub_f16_e32 v1, v4, v2
	v_fmac_f16_e32 v0, -0.5, v8
	v_add_f16_e32 v2, v2, v7
	v_add_f16_e32 v4, v9, v6
	v_fmamk_f16 v6, v5, 0xbaee, v22
	v_fmac_f16_e32 v22, 0x3aee, v5
	v_fmamk_f16 v5, v1, 0x3aee, v0
	v_fmac_f16_e32 v0, 0xbaee, v1
	v_pack_b32_f16 v1, v4, v2
	v_pack_b32_f16 v2, v5, v6
	;; [unrolled: 1-line block ×3, first 2 shown]
	ds_write2_b32 v3, v1, v0 offset0:7 offset1:151
	ds_write_b32 v62, v2 offset:1692
.LBB0_29:
	s_or_b32 exec_lo, exec_lo, s0
	s_waitcnt lgkmcnt(0)
	s_barrier
	buffer_gl0_inv
	ds_read2_b32 v[4:5], v62 offset1:27
	ds_read2_b32 v[0:1], v62 offset0:108 offset1:144
	v_add_nc_u32_e32 v6, 0x400, v62
	s_mov_b32 s4, 0xbda12f68
	s_mov_b32 s5, 0x3f62f684
	v_mad_u64_u32 v[18:19], null, s8, v76, 0
	ds_read2_b32 v[2:3], v6 offset0:32 offset1:59
	s_waitcnt lgkmcnt(2)
	v_lshrrev_b32_e32 v7, 16, v4
	v_mul_f16_sdwa v8, v77, v4 dst_sel:DWORD dst_unused:UNUSED_PAD src0_sel:WORD_1 src1_sel:DWORD
	s_waitcnt lgkmcnt(1)
	v_lshrrev_b32_e32 v9, 16, v1
	v_mul_f16_sdwa v10, v79, v1 dst_sel:DWORD dst_unused:UNUSED_PAD src0_sel:WORD_1 src1_sel:DWORD
	v_mul_f16_sdwa v11, v77, v7 dst_sel:DWORD dst_unused:UNUSED_PAD src0_sel:WORD_1 src1_sel:DWORD
	v_fma_f16 v7, v77, v7, -v8
	v_mul_f16_sdwa v20, v79, v9 dst_sel:DWORD dst_unused:UNUSED_PAD src0_sel:WORD_1 src1_sel:DWORD
	v_fma_f16 v8, v79, v9, -v10
	v_mad_u64_u32 v[9:10], null, s10, v17, 0
	v_fmac_f16_e32 v11, v77, v4
	v_cvt_f32_f16_e32 v4, v7
	v_cvt_f32_f16_e32 v12, v8
	v_fmac_f16_e32 v20, v79, v1
	s_waitcnt lgkmcnt(0)
	v_lshrrev_b32_e32 v27, 16, v2
	v_cvt_f32_f16_e32 v13, v11
	v_cvt_f64_f32_e32 v[7:8], v4
	v_cvt_f64_f32_e32 v[11:12], v12
	v_cvt_f32_f16_e32 v20, v20
	v_mul_f16_sdwa v4, v78, v27 dst_sel:DWORD dst_unused:UNUSED_PAD src0_sel:WORD_1 src1_sel:DWORD
	v_cvt_f64_f32_e32 v[13:14], v13
	v_mov_b32_e32 v1, v10
	v_cvt_f64_f32_e32 v[20:21], v20
	v_fmac_f16_e32 v4, v78, v2
	v_mad_u64_u32 v[22:23], null, s11, v17, v[1:2]
	v_cvt_f32_f16_e32 v10, v4
	v_mov_b32_e32 v4, v19
	v_cvt_f64_f32_e32 v[23:24], v10
	v_mov_b32_e32 v10, v22
	v_mul_f64 v[25:26], v[7:8], s[4:5]
	v_mul_f64 v[11:12], v[11:12], s[4:5]
	v_mad_u64_u32 v[7:8], null, s9, v76, v[4:5]
	v_mul_f64 v[13:14], v[13:14], s[4:5]
	v_mul_f16_sdwa v4, v78, v2 dst_sel:DWORD dst_unused:UNUSED_PAD src0_sel:WORD_1 src1_sel:DWORD
	v_lshlrev_b64 v[1:2], 2, v[9:10]
	v_mul_f64 v[8:9], v[20:21], s[4:5]
	v_fma_f16 v10, v78, v27, -v4
	v_mov_b32_e32 v19, v7
	v_add_co_u32 v4, s0, s6, v1
	v_add_co_ci_u32_e64 v7, s0, s7, v2, s0
	v_cvt_f32_f16_e32 v10, v10
	v_mul_f64 v[1:2], v[23:24], s[4:5]
	v_and_or_b32 v17, 0x1ff, v26, v25
	v_and_or_b32 v11, 0x1ff, v12, v11
	v_lshrrev_b32_e32 v20, 8, v26
	v_bfe_u32 v21, v26, 20, 11
	v_and_or_b32 v13, 0x1ff, v14, v13
	v_cmp_ne_u32_e64 s0, 0, v17
	v_lshrrev_b32_e32 v22, 16, v26
	v_lshrrev_b32_e32 v25, 8, v14
	v_bfe_u32 v26, v14, 20, 11
	v_and_or_b32 v8, 0x1ff, v9, v8
	v_cndmask_b32_e64 v17, 0, 1, s0
	v_cmp_ne_u32_e64 s0, 0, v11
	v_lshrrev_b32_e32 v23, 8, v12
	v_sub_nc_u32_e32 v27, 0x3f1, v21
	v_bfe_u32 v29, v9, 20, 11
	v_sub_nc_u32_e32 v31, 0x3f1, v26
	v_cndmask_b32_e64 v11, 0, 1, s0
	v_cmp_ne_u32_e64 s0, 0, v13
	v_lshrrev_b32_e32 v28, 8, v9
	v_and_or_b32 v17, 0xffe, v20, v17
	v_med3_i32 v20, v27, 0, 13
	v_add_nc_u32_e32 v27, 0xfffffc10, v29
	v_cndmask_b32_e64 v13, 0, 1, s0
	v_cmp_ne_u32_e64 s0, 0, v8
	v_and_or_b32 v23, 0xffe, v23, v11
	v_med3_i32 v11, v31, 0, 13
	v_or_b32_e32 v31, 0x1000, v17
	v_and_or_b32 v13, 0xffe, v25, v13
	v_cndmask_b32_e64 v8, 0, 1, s0
	v_sub_nc_u32_e32 v25, 0x3f1, v29
	v_add_nc_u32_e32 v21, 0xfffffc10, v21
	v_cmp_ne_u32_e64 s0, 0, v17
	v_or_b32_e32 v29, 0x1000, v13
	v_and_or_b32 v8, 0xffe, v28, v8
	v_lshrrev_b32_e32 v33, v20, v31
	v_lshl_or_b32 v32, v21, 12, v17
	v_cndmask_b32_e64 v17, 0, 1, s0
	v_lshrrev_b32_e32 v28, v11, v29
	v_add_nc_u32_e32 v26, 0xfffffc10, v26
	v_lshlrev_b32_e32 v20, v20, v33
	v_med3_i32 v25, v25, 0, 13
	v_or_b32_e32 v34, 0x1000, v8
	v_lshlrev_b32_e32 v11, v11, v28
	v_lshl_or_b32 v36, v26, 12, v13
	v_bfe_u32 v24, v12, 20, 11
	v_or_b32_e32 v35, 0x1000, v23
	v_lshrrev_b32_e32 v37, v25, v34
	v_cmp_ne_u32_e64 s0, v11, v29
	v_lshl_or_b32 v29, v27, 12, v8
	v_sub_nc_u32_e32 v30, 0x3f1, v24
	v_lshrrev_b32_e32 v14, 16, v14
	v_lshlrev_b32_e32 v25, v25, v37
	v_cndmask_b32_e64 v11, 0, 1, s0
	v_cmp_ne_u32_e64 s0, v20, v31
	v_med3_i32 v30, v30, 0, 13
	v_lshl_or_b32 v17, v17, 9, 0x7c00
	v_and_or_b32 v1, 0x1ff, v2, v1
	v_or_b32_e32 v11, v28, v11
	v_cndmask_b32_e64 v20, 0, 1, s0
	v_cmp_ne_u32_e64 s0, 0, v13
	v_lshrrev_b32_e32 v12, 16, v12
	v_or_b32_e32 v20, v33, v20
	v_cndmask_b32_e64 v13, 0, 1, s0
	v_cmp_gt_i32_e64 s0, 1, v26
	v_lshl_or_b32 v13, v13, 9, 0x7c00
	v_cndmask_b32_e64 v11, v36, v11, s0
	v_cmp_gt_i32_e64 s0, 1, v21
	v_and_b32_e32 v28, 7, v11
	v_cndmask_b32_e64 v20, v32, v20, s0
	v_cmp_ne_u32_e64 s0, v25, v34
	v_lshrrev_b32_e32 v11, 2, v11
	v_cmp_eq_u32_e64 s1, 3, v28
	v_and_b32_e32 v31, 7, v20
	v_cndmask_b32_e64 v25, 0, 1, s0
	v_cmp_lt_i32_e64 s0, 5, v28
	v_lshrrev_b32_e32 v20, 2, v20
	v_cmp_lt_i32_e64 s2, 5, v31
	v_cmp_eq_u32_e64 s3, 3, v31
	s_or_b32 s0, s1, s0
	v_or_b32_e32 v25, v37, v25
	v_add_co_ci_u32_e64 v11, s0, 0, v11, s0
	s_or_b32 s0, s3, s2
	v_add_co_ci_u32_e64 v20, s0, 0, v20, s0
	v_cmp_gt_i32_e64 s0, 31, v26
	v_cndmask_b32_e64 v11, 0x7c00, v11, s0
	v_cmp_gt_i32_e64 s0, 1, v27
	v_cndmask_b32_e64 v25, v29, v25, s0
	;; [unrolled: 2-line block ×3, first 2 shown]
	v_cmp_eq_u32_e64 s0, 0x40f, v26
	v_and_b32_e32 v26, 7, v25
	v_cndmask_b32_e64 v11, v11, v13, s0
	v_cmp_eq_u32_e64 s0, 0x40f, v21
	v_lshrrev_b32_e32 v13, v30, v35
	v_cmp_eq_u32_e64 s1, 3, v26
	v_lshrrev_b32_e32 v21, 2, v25
	v_and_or_b32 v11, 0x8000, v14, v11
	v_cndmask_b32_e64 v17, v20, v17, s0
	v_lshlrev_b32_e32 v14, v30, v13
	v_cmp_lt_i32_e64 s0, 5, v26
	v_add_nc_u32_e32 v20, 0xfffffc10, v24
	v_and_b32_e32 v11, 0xffff, v11
	v_and_or_b32 v17, 0x8000, v22, v17
	v_cmp_ne_u32_e64 s2, v14, v35
	s_or_b32 s0, s1, s0
	v_lshl_or_b32 v22, v17, 16, v11
	v_add_co_ci_u32_e64 v17, s0, 0, v21, s0
	v_cndmask_b32_e64 v14, 0, 1, s2
	v_cmp_ne_u32_e64 s0, 0, v8
	v_cmp_ne_u32_e64 s2, 0, v1
	v_or_b32_e32 v11, v13, v14
	v_lshl_or_b32 v13, v20, 12, v23
	v_cndmask_b32_e64 v8, 0, 1, s0
	v_cmp_gt_i32_e64 s0, 1, v20
	v_cndmask_b32_e64 v1, 0, 1, s2
	s_mul_hi_u32 s2, s8, 0x90
	v_lshl_or_b32 v8, v8, 9, 0x7c00
	v_cndmask_b32_e64 v21, v13, v11, s0
	v_cvt_f64_f32_e32 v[10:11], v10
	v_cmp_gt_i32_e64 s0, 31, v27
	v_lshlrev_b64 v[13:14], 2, v[18:19]
	v_lshrrev_b32_e32 v18, 8, v2
	v_and_b32_e32 v24, 7, v21
	v_bfe_u32 v19, v2, 20, 11
	v_cndmask_b32_e64 v17, 0x7c00, v17, s0
	v_cmp_eq_u32_e64 s0, 0x40f, v27
	v_and_or_b32 v1, 0xffe, v18, v1
	v_cmp_eq_u32_e64 s1, 3, v24
	v_sub_nc_u32_e32 v18, 0x3f1, v19
	v_cndmask_b32_e64 v17, v17, v8, s0
	v_cmp_lt_i32_e64 s0, 5, v24
	v_lshrrev_b32_e32 v8, 2, v21
	v_med3_i32 v18, v18, 0, 13
	v_lshrrev_b32_e32 v24, 16, v9
	s_or_b32 s0, s1, s0
	s_mul_i32 s1, s9, 0x90
	v_add_co_ci_u32_e64 v8, s0, 0, v8, s0
	v_cmp_ne_u32_e64 s0, 0, v23
	v_mul_f64 v[10:11], v[10:11], s[4:5]
	v_or_b32_e32 v23, 0x1000, v1
	s_add_i32 s3, s2, s1
	s_mul_i32 s2, s8, 0x90
	v_cndmask_b32_e64 v21, 0, 1, s0
	v_cmp_gt_i32_e64 s0, 31, v20
	s_lshl_b64 s[6:7], s[2:3], 2
	s_mul_i32 s3, s9, 0xfffffe2c
	v_lshl_or_b32 v21, v21, 9, 0x7c00
	v_cndmask_b32_e64 v8, 0x7c00, v8, s0
	v_cmp_eq_u32_e64 s0, 0x40f, v20
	v_cndmask_b32_e64 v20, v8, v21, s0
	v_lshrrev_b32_e32 v21, v18, v23
	v_add_co_u32 v8, s0, v4, v13
	v_add_co_ci_u32_e64 v9, s0, v7, v14, s0
	v_and_or_b32 v14, 0x8000, v24, v17
	v_and_or_b32 v17, 0x8000, v12, v20
	v_lshlrev_b32_e32 v12, v18, v21
	v_lshrrev_b32_e32 v20, 16, v5
	v_and_or_b32 v10, 0x1ff, v11, v10
	v_lshrrev_b32_e32 v18, 8, v11
	v_and_b32_e32 v14, 0xffff, v14
	v_cmp_ne_u32_e64 s0, v12, v23
	v_mul_f16_sdwa v13, v75, v20 dst_sel:DWORD dst_unused:UNUSED_PAD src0_sel:WORD_1 src1_sel:DWORD
	v_add_nc_u32_e32 v23, 0xfffffc10, v19
	v_bfe_u32 v19, v11, 20, 11
	v_lshl_or_b32 v14, v17, 16, v14
	v_cndmask_b32_e64 v12, 0, 1, s0
	v_cmp_ne_u32_e64 s0, 0, v10
	v_fmac_f16_e32 v13, v75, v5
	v_mul_f16_sdwa v5, v75, v5 dst_sel:DWORD dst_unused:UNUSED_PAD src0_sel:WORD_1 src1_sel:DWORD
	v_or_b32_e32 v12, v21, v12
	v_cndmask_b32_e64 v10, 0, 1, s0
	v_lshl_or_b32 v21, v23, 12, v1
	v_cmp_gt_i32_e64 s0, 1, v23
	v_cvt_f32_f16_e32 v13, v13
	v_fma_f16 v5, v75, v20, -v5
	v_and_or_b32 v10, 0xffe, v18, v10
	v_sub_nc_u32_e32 v18, 0x3f1, v19
	v_cndmask_b32_e64 v21, v21, v12, s0
	v_cvt_f64_f32_e32 v[12:13], v13
	v_cvt_f32_f16_e32 v5, v5
	v_or_b32_e32 v24, 0x1000, v10
	v_med3_i32 v18, v18, 0, 13
	v_and_b32_e32 v25, 7, v21
	v_lshrrev_b32_e32 v21, 2, v21
	v_lshrrev_b32_e32 v17, v18, v24
	v_cmp_lt_i32_e64 s0, 5, v25
	v_cmp_eq_u32_e64 s1, 3, v25
	v_lshlrev_b32_e32 v18, v18, v17
	s_or_b32 s0, s1, s0
	v_add_co_ci_u32_e64 v21, s0, 0, v21, s0
	v_cmp_ne_u32_e64 s0, v18, v24
	v_add_nc_u32_e32 v24, 0xfffffc10, v19
	v_mul_f64 v[12:13], v[12:13], s[4:5]
	v_cndmask_b32_e64 v18, 0, 1, s0
	v_cmp_ne_u32_e64 s0, 0, v1
	v_lshl_or_b32 v20, v24, 12, v10
	v_or_b32_e32 v19, v17, v18
	v_cndmask_b32_e64 v1, 0, 1, s0
	v_cmp_gt_i32_e64 s0, 31, v23
	v_cvt_f64_f32_e32 v[17:18], v5
	v_lshl_or_b32 v1, v1, 9, 0x7c00
	v_cndmask_b32_e64 v21, 0x7c00, v21, s0
	v_cmp_gt_i32_e64 s0, 1, v24
	v_cndmask_b32_e64 v5, v20, v19, s0
	v_add_co_u32 v19, s0, v8, s6
	v_add_co_ci_u32_e64 v20, s0, s7, v9, s0
	v_cmp_eq_u32_e64 s0, 0x40f, v23
	v_lshrrev_b32_e32 v23, 16, v2
	v_and_b32_e32 v25, 7, v5
	v_lshrrev_b32_e32 v5, 2, v5
	v_cndmask_b32_e64 v21, v21, v1, s0
	ds_read2_b32 v[1:2], v62 offset0:171 offset1:198
	global_store_dword v[8:9], v22, off
	global_store_dword v[19:20], v14, off
	v_and_or_b32 v8, 0x1ff, v13, v12
	v_cmp_lt_i32_e64 s0, 5, v25
	v_cmp_eq_u32_e64 s1, 3, v25
	v_and_or_b32 v12, 0x8000, v23, v21
	v_lshrrev_b32_e32 v21, 8, v13
	v_cmp_ne_u32_e64 s2, 0, v8
	v_bfe_u32 v22, v13, 20, 11
	s_or_b32 s0, s1, s0
	v_mul_f64 v[8:9], v[17:18], s[4:5]
	v_add_co_ci_u32_e64 v5, s0, 0, v5, s0
	v_cndmask_b32_e64 v14, 0, 1, s2
	v_sub_nc_u32_e32 v17, 0x3f1, v22
	v_cmp_ne_u32_e64 s0, 0, v10
	v_add_nc_u32_e32 v29, 0xfffffc10, v22
	v_and_b32_e32 v12, 0xffff, v12
	v_and_or_b32 v14, 0xffe, v21, v14
	v_med3_i32 v25, v17, 0, 13
	v_cndmask_b32_e64 v10, 0, 1, s0
	v_cmp_gt_i32_e64 s0, 31, v24
	s_waitcnt lgkmcnt(0)
	v_lshrrev_b32_e32 v23, 16, v1
	v_or_b32_e32 v21, 0x1000, v14
	v_mad_u64_u32 v[17:18], null, s8, v73, 0
	v_cndmask_b32_e64 v5, 0x7c00, v5, s0
	v_lshl_or_b32 v10, v10, 9, 0x7c00
	v_lshrrev_b32_e32 v27, v25, v21
	v_cmp_eq_u32_e64 s0, 0x40f, v24
	v_mul_f16_sdwa v26, v74, v23 dst_sel:DWORD dst_unused:UNUSED_PAD src0_sel:WORD_1 src1_sel:DWORD
	v_and_or_b32 v8, 0x1ff, v9, v8
	v_bfe_u32 v28, v9, 20, 11
	v_cndmask_b32_e64 v24, v5, v10, s0
	v_lshlrev_b32_e32 v10, v25, v27
	v_fmac_f16_e32 v26, v74, v1
	v_mov_b32_e32 v5, v18
	v_lshrrev_b32_e32 v25, 16, v11
	v_mul_f16_sdwa v1, v74, v1 dst_sel:DWORD dst_unused:UNUSED_PAD src0_sel:WORD_1 src1_sel:DWORD
	v_cmp_ne_u32_e64 s0, v10, v21
	v_cvt_f32_f16_e32 v11, v26
	v_lshrrev_b32_e32 v26, 8, v9
	v_mad_u64_u32 v[21:22], null, s9, v73, v[5:6]
	v_cndmask_b32_e64 v18, 0, 1, s0
	v_cmp_ne_u32_e64 s0, 0, v8
	v_cvt_f64_f32_e32 v[10:11], v11
	v_lshl_or_b32 v22, v29, 12, v14
	v_and_or_b32 v24, 0x8000, v25, v24
	v_or_b32_e32 v18, v27, v18
	v_cndmask_b32_e64 v8, 0, 1, s0
	v_cmp_gt_i32_e64 s0, 1, v29
	v_fma_f16 v1, v74, v23, -v1
	v_lshl_or_b32 v24, v24, 16, v12
	v_add_nc_u32_e32 v23, 0xfffffc10, v28
	v_and_or_b32 v5, 0xffe, v26, v8
	v_sub_nc_u32_e32 v8, 0x3f1, v28
	v_cndmask_b32_e64 v22, v22, v18, s0
	v_mov_b32_e32 v18, v21
	v_cvt_f32_f16_e32 v1, v1
	v_or_b32_e32 v25, 0x1000, v5
	v_med3_i32 v8, v8, 0, 13
	v_and_b32_e32 v26, 7, v22
	v_lshrrev_b32_e32 v12, 2, v22
	v_lshrrev_b32_e32 v27, 16, v13
	v_lshlrev_b64 v[17:18], 2, v[17:18]
	v_lshrrev_b32_e32 v21, v8, v25
	v_cmp_lt_i32_e64 s0, 5, v26
	v_mul_f64 v[10:11], v[10:11], s[4:5]
	v_lshlrev_b32_e32 v8, v8, v21
	v_cmp_ne_u32_e64 s1, v8, v25
	v_lshl_or_b32 v25, v23, 12, v5
	v_cndmask_b32_e64 v8, 0, 1, s1
	v_cmp_eq_u32_e64 s1, 3, v26
	v_or_b32_e32 v8, v21, v8
	s_or_b32 s0, s1, s0
	v_cvt_f64_f32_e32 v[21:22], v1
	v_add_co_ci_u32_e64 v1, s0, 0, v12, s0
	v_cmp_ne_u32_e64 s0, 0, v14
	v_and_or_b32 v10, 0x1ff, v11, v10
	v_bfe_u32 v26, v11, 20, 11
	v_cndmask_b32_e64 v12, 0, 1, s0
	v_cmp_gt_i32_e64 s0, 1, v23
	v_lshl_or_b32 v12, v12, 9, 0x7c00
	v_cndmask_b32_e64 v8, v25, v8, s0
	v_cmp_gt_i32_e64 s0, 31, v29
	v_lshrrev_b32_e32 v25, 8, v11
	v_lshrrev_b32_e32 v11, 16, v11
	v_and_b32_e32 v14, 7, v8
	v_cndmask_b32_e64 v1, 0x7c00, v1, s0
	v_cmp_ne_u32_e64 s0, 0, v10
	v_lshrrev_b32_e32 v8, 2, v8
	v_cmp_eq_u32_e64 s1, 3, v14
	v_cndmask_b32_e64 v10, 0, 1, s0
	v_cmp_eq_u32_e64 s0, 0x40f, v29
	v_and_or_b32 v25, 0xffe, v25, v10
	v_cndmask_b32_e64 v1, v1, v12, s0
	v_cmp_lt_i32_e64 s0, 5, v14
	v_mul_f64 v[12:13], v[21:22], s[4:5]
	v_sub_nc_u32_e32 v10, 0x3f1, v26
	v_or_b32_e32 v14, 0x1000, v25
	v_lshrrev_b32_e32 v21, 16, v3
	s_or_b32 s0, s1, s0
	v_and_or_b32 v1, 0x8000, v27, v1
	v_add_co_ci_u32_e64 v8, s0, 0, v8, s0
	v_med3_i32 v10, v10, 0, 13
	v_cmp_ne_u32_e64 s0, 0, v5
	v_mul_f16_sdwa v28, v72, v21 dst_sel:DWORD dst_unused:UNUSED_PAD src0_sel:WORD_1 src1_sel:DWORD
	v_and_b32_e32 v1, 0xffff, v1
	v_lshrrev_b32_e32 v22, v10, v14
	v_cndmask_b32_e64 v5, 0, 1, s0
	v_cmp_gt_i32_e64 s0, 31, v23
	v_fmac_f16_e32 v28, v72, v3
	v_mul_f16_sdwa v3, v72, v3 dst_sel:DWORD dst_unused:UNUSED_PAD src0_sel:WORD_1 src1_sel:DWORD
	v_lshlrev_b32_e32 v10, v10, v22
	v_lshl_or_b32 v5, v5, 9, 0x7c00
	v_cndmask_b32_e64 v8, 0x7c00, v8, s0
	v_cmp_eq_u32_e64 s0, 0x40f, v23
	v_and_or_b32 v12, 0x1ff, v13, v12
	v_lshrrev_b32_e32 v23, 16, v9
	v_bfe_u32 v27, v13, 20, 11
	v_fma_f16 v3, v72, v21, -v3
	v_cndmask_b32_e64 v5, v8, v5, s0
	v_cmp_ne_u32_e64 s0, v10, v14
	v_cvt_f32_f16_e32 v8, v28
	v_add_nc_u32_e32 v14, 0xfffffc10, v26
	v_lshrrev_b32_e32 v26, 8, v13
	v_and_or_b32 v5, 0x8000, v23, v5
	v_cndmask_b32_e64 v10, 0, 1, s0
	v_cmp_ne_u32_e64 s0, 0, v12
	v_cvt_f64_f32_e32 v[8:9], v8
	v_sub_nc_u32_e32 v23, 0x3f1, v27
	v_lshl_or_b32 v1, v5, 16, v1
	v_or_b32_e32 v10, v22, v10
	v_cndmask_b32_e64 v12, 0, 1, s0
	v_lshl_or_b32 v22, v14, 12, v25
	v_cmp_gt_i32_e64 s0, 1, v14
	v_med3_i32 v23, v23, 0, 13
	v_cvt_f32_f16_e32 v3, v3
	v_and_or_b32 v12, 0xffe, v26, v12
	v_lshrrev_b32_e32 v13, 16, v13
	v_cndmask_b32_e64 v22, v22, v10, s0
	v_add_co_u32 v17, s0, v4, v17
	v_or_b32_e32 v10, 0x1000, v12
	v_add_co_ci_u32_e64 v18, s0, v7, v18, s0
	v_and_b32_e32 v26, 7, v22
	v_lshrrev_b32_e32 v28, v23, v10
	v_mul_f64 v[4:5], v[8:9], s[4:5]
	v_cmp_lt_i32_e64 s0, 5, v26
	v_lshlrev_b32_e32 v9, v23, v28
	v_cmp_eq_u32_e64 s1, 3, v26
	v_mad_u64_u32 v[7:8], null, 0xfffffe2c, s8, v[19:20]
	v_add_nc_u32_e32 v20, 0xfffffc10, v27
	v_cmp_ne_u32_e64 s2, v9, v10
	v_cvt_f64_f32_e32 v[9:10], v3
	v_lshrrev_b32_e32 v3, 2, v22
	s_or_b32 s0, s1, s0
	v_lshl_or_b32 v21, v20, 12, v12
	v_cndmask_b32_e64 v19, 0, 1, s2
	s_sub_i32 s2, s3, s8
	v_add_co_ci_u32_e64 v3, s0, 0, v3, s0
	v_cmp_ne_u32_e64 s0, 0, v25
	v_or_b32_e32 v19, v28, v19
	v_add_nc_u32_e32 v8, s2, v8
	v_cndmask_b32_e64 v22, 0, 1, s0
	v_cmp_gt_i32_e64 s0, 1, v20
	v_and_or_b32 v4, 0x1ff, v5, v4
	v_lshrrev_b32_e32 v26, 8, v5
	v_bfe_u32 v27, v5, 20, 11
	v_lshl_or_b32 v22, v22, 9, 0x7c00
	v_cndmask_b32_e64 v19, v21, v19, s0
	v_cmp_gt_i32_e64 s0, 31, v14
	v_lshrrev_b32_e32 v5, 16, v5
	v_mul_f64 v[9:10], v[9:10], s[4:5]
	v_and_b32_e32 v23, 7, v19
	v_cndmask_b32_e64 v21, 0x7c00, v3, s0
	v_cmp_ne_u32_e64 s0, 0, v4
	ds_read2_b32 v[3:4], v62 offset0:54 offset1:81
	global_store_dword v[17:18], v24, off
	global_store_dword v[7:8], v1, off
	v_cmp_eq_u32_e64 s1, 3, v23
	v_cndmask_b32_e64 v25, 0, 1, s0
	v_cmp_eq_u32_e64 s0, 0x40f, v14
	v_cndmask_b32_e64 v14, v21, v22, s0
	v_cmp_lt_i32_e64 s0, 5, v23
	v_and_or_b32 v21, 0xffe, v26, v25
	v_sub_nc_u32_e32 v22, 0x3f1, v27
	v_and_or_b32 v14, 0x8000, v11, v14
	v_lshrrev_b32_e32 v11, 2, v19
	s_or_b32 s0, s1, s0
	v_or_b32_e32 v19, 0x1000, v21
	v_med3_i32 v22, v22, 0, 13
	s_waitcnt lgkmcnt(0)
	v_lshrrev_b32_e32 v25, 16, v3
	v_add_co_ci_u32_e64 v11, s0, 0, v11, s0
	v_cmp_ne_u32_e64 s0, 0, v12
	v_lshrrev_b32_e32 v23, v22, v19
	v_and_or_b32 v9, 0x1ff, v10, v9
	v_mul_f16_sdwa v26, v71, v25 dst_sel:DWORD dst_unused:UNUSED_PAD src0_sel:WORD_1 src1_sel:DWORD
	v_and_b32_e32 v14, 0xffff, v14
	v_cndmask_b32_e64 v12, 0, 1, s0
	v_cmp_gt_i32_e64 s0, 31, v20
	v_lshlrev_b32_e32 v22, v22, v23
	v_fmac_f16_e32 v26, v71, v3
	v_mul_f16_sdwa v3, v71, v3 dst_sel:DWORD dst_unused:UNUSED_PAD src0_sel:WORD_1 src1_sel:DWORD
	v_lshl_or_b32 v12, v12, 9, 0x7c00
	v_cndmask_b32_e64 v11, 0x7c00, v11, s0
	v_cmp_eq_u32_e64 s0, 0x40f, v20
	v_fma_f16 v3, v71, v25, -v3
	v_cndmask_b32_e64 v20, v11, v12, s0
	v_cmp_ne_u32_e64 s0, v22, v19
	v_lshrrev_b32_e32 v12, 8, v10
	v_bfe_u32 v19, v10, 20, 11
	v_cvt_f32_f16_e32 v22, v26
	v_add_nc_u32_e32 v26, 0xfffffc10, v27
	v_cndmask_b32_e64 v11, 0, 1, s0
	v_cmp_ne_u32_e64 s0, 0, v9
	v_sub_nc_u32_e32 v27, 0x3f1, v19
	v_and_or_b32 v13, 0x8000, v13, v20
	v_add_nc_u32_e32 v17, 0xfffffc10, v19
	v_or_b32_e32 v23, v23, v11
	v_cndmask_b32_e64 v9, 0, 1, s0
	v_cmp_gt_i32_e64 s0, 1, v26
	v_med3_i32 v27, v27, 0, 13
	v_lshl_or_b32 v1, v13, 16, v14
	v_cvt_f32_f16_e32 v3, v3
	v_and_or_b32 v9, 0xffe, v12, v9
	v_cvt_f64_f32_e32 v[11:12], v22
	v_lshl_or_b32 v22, v26, 12, v21
	v_lshrrev_b32_e32 v10, 16, v10
	v_or_b32_e32 v28, 0x1000, v9
	v_cndmask_b32_e64 v22, v22, v23, s0
	v_lshrrev_b32_e32 v20, v27, v28
	v_and_b32_e32 v23, 7, v22
	v_lshrrev_b32_e32 v14, 2, v22
	v_lshrrev_b32_e32 v22, 16, v2
	v_lshlrev_b32_e32 v13, v27, v20
	v_cmp_lt_i32_e64 s0, 5, v23
	v_cmp_eq_u32_e64 s1, 3, v23
	v_mul_f16_sdwa v23, v70, v22 dst_sel:DWORD dst_unused:UNUSED_PAD src0_sel:WORD_1 src1_sel:DWORD
	v_cmp_ne_u32_e64 s2, v13, v28
	v_mul_f64 v[11:12], v[11:12], s[4:5]
	s_or_b32 s0, s1, s0
	v_cndmask_b32_e64 v13, 0, 1, s2
	v_add_co_ci_u32_e64 v18, s0, 0, v14, s0
	v_cmp_ne_u32_e64 s0, 0, v21
	v_lshl_or_b32 v14, v17, 12, v9
	v_or_b32_e32 v13, v20, v13
	v_fmac_f16_e32 v23, v70, v2
	v_mul_f16_sdwa v2, v70, v2 dst_sel:DWORD dst_unused:UNUSED_PAD src0_sel:WORD_1 src1_sel:DWORD
	v_cndmask_b32_e64 v19, 0, 1, s0
	v_cmp_gt_i32_e64 s0, 1, v17
	v_fma_f16 v2, v70, v22, -v2
	v_cndmask_b32_e64 v20, v14, v13, s0
	v_cvt_f64_f32_e32 v[13:14], v3
	v_cmp_gt_i32_e64 s0, 31, v26
	v_cvt_f32_f16_e32 v2, v2
	v_and_or_b32 v11, 0x1ff, v12, v11
	v_cndmask_b32_e64 v3, 0x7c00, v18, s0
	v_add_co_u32 v7, s0, v7, s6
	v_add_co_ci_u32_e64 v8, s0, s7, v8, s0
	v_lshl_or_b32 v18, v19, 9, 0x7c00
	v_and_b32_e32 v19, 7, v20
	v_cmp_eq_u32_e64 s0, 0x40f, v26
	v_cmp_ne_u32_e64 s2, 0, v11
	global_store_dword v[7:8], v1, off
	v_cmp_eq_u32_e64 s1, 3, v19
	v_cndmask_b32_e64 v3, v3, v18, s0
	v_cmp_lt_i32_e64 s0, 5, v19
	v_lshrrev_b32_e32 v18, 2, v20
	v_cndmask_b32_e64 v11, 0, 1, s2
	v_lshrrev_b32_e32 v19, 8, v12
	v_bfe_u32 v20, v12, 20, 11
	v_mul_f64 v[13:14], v[13:14], s[4:5]
	s_or_b32 s0, s1, s0
	v_and_or_b32 v3, 0x8000, v5, v3
	v_and_or_b32 v11, 0xffe, v19, v11
	v_sub_nc_u32_e32 v19, 0x3f1, v20
	v_add_co_ci_u32_e64 v18, s0, 0, v18, s0
	v_cmp_ne_u32_e64 s0, 0, v9
	v_or_b32_e32 v21, 0x1000, v11
	v_med3_i32 v19, v19, 0, 13
	v_cvt_f32_f16_e32 v5, v23
	v_and_b32_e32 v3, 0xffff, v3
	v_cndmask_b32_e64 v9, 0, 1, s0
	v_cmp_gt_i32_e64 s0, 31, v17
	v_lshrrev_b32_e32 v24, v19, v21
	v_lshrrev_b32_e32 v12, 16, v12
	v_lshl_or_b32 v9, v9, 9, 0x7c00
	v_cndmask_b32_e64 v18, 0x7c00, v18, s0
	v_cmp_eq_u32_e64 s0, 0x40f, v17
	v_lshlrev_b32_e32 v1, v19, v24
	v_and_or_b32 v13, 0x1ff, v14, v13
	v_bfe_u32 v19, v14, 20, 11
	v_cndmask_b32_e64 v9, v18, v9, s0
	v_cmp_ne_u32_e64 s0, v1, v21
	v_lshrrev_b32_e32 v18, 8, v14
	v_lshrrev_b32_e32 v14, 16, v14
	v_and_or_b32 v17, 0x8000, v10, v9
	v_cndmask_b32_e64 v1, 0, 1, s0
	v_cmp_ne_u32_e64 s0, 0, v13
	v_cvt_f64_f32_e32 v[9:10], v5
	v_add_nc_u32_e32 v5, 0xfffffc10, v20
	v_lshl_or_b32 v3, v17, 16, v3
	v_or_b32_e32 v1, v24, v1
	v_cndmask_b32_e64 v13, 0, 1, s0
	v_lshl_or_b32 v20, v5, 12, v11
	v_cmp_gt_i32_e64 s0, 1, v5
	v_and_or_b32 v13, 0xffe, v18, v13
	v_sub_nc_u32_e32 v18, 0x3f1, v19
	v_add_nc_u32_e32 v19, 0xfffffc10, v19
	v_cndmask_b32_e64 v1, v20, v1, s0
	v_add_co_u32 v7, s0, v7, s6
	v_or_b32_e32 v17, 0x1000, v13
	v_med3_i32 v18, v18, 0, 13
	v_add_co_ci_u32_e64 v8, s0, s7, v8, s0
	v_and_b32_e32 v21, 7, v1
	v_lshrrev_b32_e32 v1, 2, v1
	v_lshrrev_b32_e32 v20, v18, v17
	v_mul_f64 v[9:10], v[9:10], s[4:5]
	global_store_dword v[7:8], v3, off
	v_cmp_lt_i32_e64 s0, 5, v21
	v_cmp_eq_u32_e64 s1, 3, v21
	v_lshlrev_b32_e32 v3, v18, v20
	s_or_b32 s0, s1, s0
	v_cmp_ne_u32_e64 s2, v3, v17
	v_add_co_ci_u32_e64 v1, s0, 0, v1, s0
	v_cmp_ne_u32_e64 s0, 0, v11
	v_cvt_f64_f32_e32 v[17:18], v2
	v_cndmask_b32_e64 v3, 0, 1, s2
	s_mul_i32 s2, s9, 0xfffffefb
	v_cndmask_b32_e64 v2, 0, 1, s0
	v_cmp_gt_i32_e64 s0, 1, v19
	v_or_b32_e32 v3, v20, v3
	v_lshl_or_b32 v20, v19, 12, v13
	v_lshrrev_b32_e32 v22, 8, v10
	v_bfe_u32 v23, v10, 20, 11
	v_cndmask_b32_e64 v11, v20, v3, s0
	v_and_or_b32 v3, 0x1ff, v10, v9
	v_cmp_gt_i32_e64 s0, 31, v5
	v_lshl_or_b32 v9, v2, 9, 0x7c00
	v_lshrrev_b32_e32 v10, 16, v10
	v_and_b32_e32 v20, 7, v11
	v_lshrrev_b32_e32 v11, 2, v11
	v_cndmask_b32_e64 v1, 0x7c00, v1, s0
	v_cmp_ne_u32_e64 s0, 0, v3
	ds_read2_b32 v[2:3], v6 offset0:86 offset1:113
	v_cmp_eq_u32_e64 s1, 3, v20
	v_cndmask_b32_e64 v21, 0, 1, s0
	v_cmp_eq_u32_e64 s0, 0x40f, v5
	v_mul_f64 v[5:6], v[17:18], s[4:5]
	v_cndmask_b32_e64 v1, v1, v9, s0
	v_cmp_lt_i32_e64 s0, 5, v20
	v_and_or_b32 v9, 0xffe, v22, v21
	v_sub_nc_u32_e32 v21, 0x3f1, v23
	v_and_or_b32 v22, 0x8000, v12, v1
	s_or_b32 s0, s1, s0
	v_or_b32_e32 v17, 0x1000, v9
	v_add_co_ci_u32_e64 v11, s0, 0, v11, s0
	v_med3_i32 v18, v21, 0, 13
	v_cmp_ne_u32_e64 s0, 0, v13
	s_waitcnt lgkmcnt(0)
	v_lshrrev_b32_e32 v21, 16, v2
	v_lshrrev_b32_e32 v20, v18, v17
	v_cndmask_b32_e64 v13, 0, 1, s0
	v_cmp_gt_i32_e64 s0, 31, v19
	v_and_or_b32 v5, 0x1ff, v6, v5
	v_lshlrev_b32_e32 v18, v18, v20
	v_lshl_or_b32 v13, v13, 9, 0x7c00
	v_cndmask_b32_e64 v11, 0x7c00, v11, s0
	v_cmp_eq_u32_e64 s0, 0x40f, v19
	v_bfe_u32 v19, v6, 20, 11
	v_cndmask_b32_e64 v1, v11, v13, s0
	v_cmp_ne_u32_e64 s0, v18, v17
	v_mul_f16_sdwa v11, v69, v21 dst_sel:DWORD dst_unused:UNUSED_PAD src0_sel:WORD_1 src1_sel:DWORD
	v_add_nc_u32_e32 v13, 0xfffffc10, v23
	v_lshrrev_b32_e32 v18, 8, v6
	v_and_or_b32 v14, 0x8000, v14, v1
	v_cndmask_b32_e64 v12, 0, 1, s0
	v_cmp_ne_u32_e64 s0, 0, v5
	v_fmac_f16_e32 v11, v69, v2
	v_lshl_or_b32 v17, v13, 12, v9
	v_mul_f16_sdwa v2, v69, v2 dst_sel:DWORD dst_unused:UNUSED_PAD src0_sel:WORD_1 src1_sel:DWORD
	v_or_b32_e32 v12, v20, v12
	v_cndmask_b32_e64 v5, 0, 1, s0
	v_cmp_gt_i32_e64 s0, 1, v13
	v_cvt_f32_f16_e32 v11, v11
	v_fma_f16 v2, v69, v21, -v2
	v_and_b32_e32 v21, 0xffff, v22
	v_and_or_b32 v5, 0xffe, v18, v5
	v_sub_nc_u32_e32 v18, 0x3f1, v19
	v_cndmask_b32_e64 v17, v17, v12, s0
	v_cvt_f64_f32_e32 v[11:12], v11
	s_mul_hi_u32 s0, s8, 0xfffffefb
	v_or_b32_e32 v20, 0x1000, v5
	v_med3_i32 v18, v18, 0, 13
	v_and_b32_e32 v1, 7, v17
	s_sub_i32 s3, s0, s8
	v_add_nc_u32_e32 v19, 0xfffffc10, v19
	s_add_i32 s3, s3, s2
	v_lshrrev_b32_e32 v23, v18, v20
	v_cmp_lt_i32_e64 s0, 5, v1
	v_cmp_eq_u32_e64 s1, 3, v1
	v_lshrrev_b32_e32 v1, 2, v17
	s_mul_i32 s2, s8, 0xfffffefb
	v_lshlrev_b32_e32 v17, v18, v23
	s_lshl_b64 s[8:9], s[2:3], 2
	s_or_b32 s0, s1, s0
	v_lshrrev_b32_e32 v6, 16, v6
	v_add_co_ci_u32_e64 v18, s0, 0, v1, s0
	v_cmp_ne_u32_e64 s0, v17, v20
	v_cvt_f32_f16_e32 v1, v2
	v_lshl_or_b32 v20, v19, 12, v5
	v_mul_f64 v[11:12], v[11:12], s[4:5]
	v_cndmask_b32_e64 v17, 0, 1, s0
	v_cmp_ne_u32_e64 s0, 0, v9
	v_cvt_f64_f32_e32 v[1:2], v1
	v_or_b32_e32 v17, v23, v17
	v_cndmask_b32_e64 v9, 0, 1, s0
	v_cmp_gt_i32_e64 s0, 31, v13
	v_lshl_or_b32 v9, v9, 9, 0x7c00
	v_cndmask_b32_e64 v18, 0x7c00, v18, s0
	v_cmp_gt_i32_e64 s0, 1, v19
	v_cndmask_b32_e64 v17, v20, v17, s0
	v_cmp_eq_u32_e64 s0, 0x40f, v13
	v_and_or_b32 v11, 0x1ff, v12, v11
	v_lshl_or_b32 v20, v14, 16, v21
	v_and_b32_e32 v13, 7, v17
	v_cndmask_b32_e64 v9, v18, v9, s0
	v_cmp_ne_u32_e64 s2, 0, v11
	v_lshrrev_b32_e32 v11, 8, v12
	v_cmp_lt_i32_e64 s0, 5, v13
	v_and_or_b32 v14, 0x8000, v10, v9
	v_mul_f64 v[9:10], v[1:2], s[4:5]
	v_cmp_eq_u32_e64 s1, 3, v13
	v_lshrrev_b32_e32 v1, 2, v17
	v_cndmask_b32_e64 v2, 0, 1, s2
	v_bfe_u32 v13, v12, 20, 11
	v_lshrrev_b32_e32 v17, 16, v4
	s_or_b32 s0, s1, s0
	v_and_b32_e32 v14, 0xffff, v14
	v_add_co_ci_u32_e64 v1, s0, 0, v1, s0
	v_and_or_b32 v11, 0xffe, v11, v2
	v_sub_nc_u32_e32 v2, 0x3f1, v13
	v_cmp_ne_u32_e64 s0, 0, v5
	v_mul_f16_sdwa v21, v68, v17 dst_sel:DWORD dst_unused:UNUSED_PAD src0_sel:WORD_1 src1_sel:DWORD
	v_or_b32_e32 v18, 0x1000, v11
	v_med3_i32 v2, v2, 0, 13
	v_cndmask_b32_e64 v5, 0, 1, s0
	v_cmp_gt_i32_e64 s0, 31, v19
	v_fmac_f16_e32 v21, v68, v4
	v_lshrrev_b32_e32 v22, v2, v18
	v_lshl_or_b32 v5, v5, 9, 0x7c00
	v_cndmask_b32_e64 v1, 0x7c00, v1, s0
	v_and_or_b32 v9, 0x1ff, v10, v9
	v_cmp_eq_u32_e64 s0, 0x40f, v19
	v_lshlrev_b32_e32 v19, v2, v22
	v_bfe_u32 v23, v10, 20, 11
	v_cndmask_b32_e64 v5, v1, v5, s0
	v_cmp_ne_u32_e64 s0, 0, v9
	v_cvt_f32_f16_e32 v1, v21
	v_lshrrev_b32_e32 v21, 8, v10
	v_lshrrev_b32_e32 v10, 16, v10
	v_and_or_b32 v24, 0x8000, v6, v5
	v_cndmask_b32_e64 v9, 0, 1, s0
	v_cmp_ne_u32_e64 s0, v19, v18
	v_cvt_f64_f32_e32 v[1:2], v1
	v_add_nc_u32_e32 v19, 0xfffffc10, v13
	v_sub_nc_u32_e32 v13, 0x3f1, v23
	v_and_or_b32 v9, 0xffe, v21, v9
	v_cndmask_b32_e64 v18, 0, 1, s0
	v_lshl_or_b32 v24, v24, 16, v14
	v_lshl_or_b32 v21, v19, 12, v11
	v_med3_i32 v13, v13, 0, 13
	v_cmp_gt_i32_e64 s0, 1, v19
	v_or_b32_e32 v18, v22, v18
	v_or_b32_e32 v22, 0x1000, v9
	v_cndmask_b32_e64 v18, v21, v18, s0
	v_lshrrev_b32_e32 v21, v13, v22
	v_add_co_u32 v5, s0, v7, s8
	v_add_co_ci_u32_e64 v6, s0, s9, v8, s0
	v_lshlrev_b32_e32 v26, v13, v21
	v_and_b32_e32 v25, 7, v18
	v_mul_f64 v[7:8], v[1:2], s[4:5]
	v_mul_f16_sdwa v1, v68, v4 dst_sel:DWORD dst_unused:UNUSED_PAD src0_sel:WORD_1 src1_sel:DWORD
	v_add_co_u32 v13, s0, v5, s6
	v_cmp_ne_u32_e64 s1, v26, v22
	v_add_co_ci_u32_e64 v14, s0, s7, v6, s0
	v_cmp_lt_i32_e64 s0, 5, v25
	v_fma_f16 v1, v68, v17, -v1
	v_cndmask_b32_e64 v2, 0, 1, s1
	v_cmp_eq_u32_e64 s1, 3, v25
	v_lshrrev_b32_e32 v22, 2, v18
	v_add_nc_u32_e32 v4, 0xfffffc10, v23
	v_cvt_f32_f16_e32 v1, v1
	v_or_b32_e32 v2, v21, v2
	s_or_b32 s0, s1, s0
	v_add_co_ci_u32_e64 v22, s0, 0, v22, s0
	v_cmp_ne_u32_e64 s0, 0, v11
	v_cvt_f64_f32_e32 v[17:18], v1
	v_lshl_or_b32 v21, v4, 12, v9
	v_and_or_b32 v7, 0x1ff, v8, v7
	v_lshrrev_b32_e32 v25, 8, v8
	v_cndmask_b32_e64 v11, 0, 1, s0
	v_cmp_gt_i32_e64 s0, 1, v4
	v_bfe_u32 v26, v8, 20, 11
	v_lshrrev_b32_e32 v8, 16, v8
	v_lshl_or_b32 v11, v11, 9, 0x7c00
	v_cndmask_b32_e64 v21, v21, v2, s0
	v_cmp_gt_i32_e64 s0, 31, v19
	ds_read2_b32 v[1:2], v62 offset0:225 offset1:252
	global_store_dword v[5:6], v20, off
	global_store_dword v[13:14], v24, off
	v_and_b32_e32 v23, 7, v21
	v_cndmask_b32_e64 v22, 0x7c00, v22, s0
	v_cmp_ne_u32_e64 s0, 0, v7
	v_cmp_eq_u32_e64 s1, 3, v23
	v_cndmask_b32_e64 v7, 0, 1, s0
	v_cmp_eq_u32_e64 s0, 0x40f, v19
	v_and_or_b32 v7, 0xffe, v25, v7
	v_cndmask_b32_e64 v19, v22, v11, s0
	v_cmp_lt_i32_e64 s0, 5, v23
	v_lshrrev_b32_e32 v22, 16, v12
	v_mul_f64 v[11:12], v[17:18], s[4:5]
	v_lshrrev_b32_e32 v17, 2, v21
	v_sub_nc_u32_e32 v25, 0x3f1, v26
	s_or_b32 s0, s1, s0
	v_or_b32_e32 v18, 0x1000, v7
	s_waitcnt lgkmcnt(0)
	v_lshrrev_b32_e32 v23, 16, v1
	v_add_co_ci_u32_e64 v17, s0, 0, v17, s0
	v_med3_i32 v21, v25, 0, 13
	v_cmp_ne_u32_e64 s0, 0, v9
	v_mul_f16_sdwa v25, v67, v23 dst_sel:DWORD dst_unused:UNUSED_PAD src0_sel:WORD_1 src1_sel:DWORD
	v_and_or_b32 v19, 0x8000, v22, v19
	v_add_nc_u32_e32 v22, 0xfffffc10, v26
	v_lshrrev_b32_e32 v27, v21, v18
	v_cndmask_b32_e64 v9, 0, 1, s0
	v_cmp_gt_i32_e64 s0, 31, v4
	v_fmac_f16_e32 v25, v67, v1
	v_lshl_or_b32 v26, v22, 12, v7
	v_lshlrev_b32_e32 v21, v21, v27
	v_lshl_or_b32 v9, v9, 9, 0x7c00
	v_cndmask_b32_e64 v17, 0x7c00, v17, s0
	v_cmp_eq_u32_e64 s0, 0x40f, v4
	v_and_or_b32 v11, 0x1ff, v12, v11
	v_mul_f16_sdwa v1, v67, v1 dst_sel:DWORD dst_unused:UNUSED_PAD src0_sel:WORD_1 src1_sel:DWORD
	v_cndmask_b32_e64 v4, v17, v9, s0
	v_cmp_ne_u32_e64 s0, v21, v18
	v_cvt_f32_f16_e32 v9, v25
	v_bfe_u32 v25, v12, 20, 11
	v_fma_f16 v1, v67, v23, -v1
	v_and_or_b32 v4, 0x8000, v10, v4
	v_cndmask_b32_e64 v21, 0, 1, s0
	v_cmp_ne_u32_e64 s0, 0, v11
	v_cvt_f64_f32_e32 v[17:18], v9
	v_lshrrev_b32_e32 v11, 8, v12
	v_and_b32_e32 v10, 0xffff, v19
	v_or_b32_e32 v21, v27, v21
	v_cndmask_b32_e64 v9, 0, 1, s0
	v_cmp_gt_i32_e64 s0, 1, v22
	v_cvt_f32_f16_e32 v1, v1
	v_lshl_or_b32 v20, v4, 16, v10
	v_lshrrev_b32_e32 v12, 16, v12
	v_and_or_b32 v11, 0xffe, v11, v9
	v_sub_nc_u32_e32 v9, 0x3f1, v25
	v_cndmask_b32_e64 v21, v26, v21, s0
	v_or_b32_e32 v19, 0x1000, v11
	v_med3_i32 v9, v9, 0, 13
	v_and_b32_e32 v26, 7, v21
	v_lshrrev_b32_e32 v10, 2, v21
	v_lshrrev_b32_e32 v6, v9, v19
	v_cmp_lt_i32_e64 s0, 5, v26
	v_cmp_eq_u32_e64 s1, 3, v26
	v_mul_f64 v[4:5], v[17:18], s[4:5]
	v_add_nc_u32_e32 v17, 0xfffffc10, v25
	v_lshlrev_b32_e32 v9, v9, v6
	s_or_b32 s0, s1, s0
	v_add_co_ci_u32_e64 v10, s0, 0, v10, s0
	v_cmp_ne_u32_e64 s0, v9, v19
	v_cndmask_b32_e64 v9, 0, 1, s0
	v_cmp_ne_u32_e64 s0, 0, v7
	v_or_b32_e32 v6, v6, v9
	v_cndmask_b32_e64 v7, 0, 1, s0
	v_cmp_gt_i32_e64 s0, 31, v22
	v_lshl_or_b32 v9, v17, 12, v11
	v_lshl_or_b32 v19, v7, 9, 0x7c00
	v_cndmask_b32_e64 v18, 0x7c00, v10, s0
	v_cmp_gt_i32_e64 s0, 1, v17
	v_cndmask_b32_e64 v21, v9, v6, s0
	v_cvt_f64_f32_e32 v[6:7], v1
	v_add_co_u32 v9, s0, v13, s6
	v_add_co_ci_u32_e64 v10, s0, s7, v14, s0
	v_and_or_b32 v1, 0x1ff, v5, v4
	v_cmp_eq_u32_e64 s0, 0x40f, v22
	v_and_b32_e32 v13, 7, v21
	v_lshrrev_b32_e32 v14, 8, v5
	v_lshrrev_b32_e32 v21, 2, v21
	global_store_dword v[9:10], v20, off
	v_cndmask_b32_e64 v4, v18, v19, s0
	v_cmp_ne_u32_e64 s0, 0, v1
	v_bfe_u32 v18, v5, 20, 11
	v_lshrrev_b32_e32 v19, 16, v3
	v_cmp_eq_u32_e64 s1, 3, v13
	v_and_or_b32 v4, 0x8000, v8, v4
	v_cndmask_b32_e64 v1, 0, 1, s0
	v_cmp_lt_i32_e64 s0, 5, v13
	v_sub_nc_u32_e32 v13, 0x3f1, v18
	v_and_b32_e32 v4, 0xffff, v4
	v_mul_f64 v[6:7], v[6:7], s[4:5]
	v_and_or_b32 v1, 0xffe, v14, v1
	v_mul_f16_sdwa v14, v66, v19 dst_sel:DWORD dst_unused:UNUSED_PAD src0_sel:WORD_1 src1_sel:DWORD
	s_or_b32 s0, s1, s0
	v_med3_i32 v13, v13, 0, 13
	v_add_co_ci_u32_e64 v21, s0, 0, v21, s0
	v_or_b32_e32 v22, 0x1000, v1
	v_cmp_ne_u32_e64 s0, 0, v11
	v_fmac_f16_e32 v14, v66, v3
	v_mul_f16_sdwa v3, v66, v3 dst_sel:DWORD dst_unused:UNUSED_PAD src0_sel:WORD_1 src1_sel:DWORD
	v_lshrrev_b32_e32 v23, v13, v22
	v_cndmask_b32_e64 v11, 0, 1, s0
	v_cmp_gt_i32_e64 s0, 31, v17
	v_cvt_f32_f16_e32 v14, v14
	v_fma_f16 v3, v66, v19, -v3
	v_lshlrev_b32_e32 v8, v13, v23
	v_lshl_or_b32 v11, v11, 9, 0x7c00
	v_cndmask_b32_e64 v21, 0x7c00, v21, s0
	v_cmp_eq_u32_e64 s0, 0x40f, v17
	v_cvt_f64_f32_e32 v[13:14], v14
	v_and_or_b32 v6, 0x1ff, v7, v6
	v_add_nc_u32_e32 v17, 0xfffffc10, v18
	v_lshrrev_b32_e32 v18, 8, v7
	v_cndmask_b32_e64 v11, v21, v11, s0
	v_cmp_ne_u32_e64 s0, v8, v22
	v_bfe_u32 v21, v7, 20, 11
	v_cvt_f32_f16_e32 v3, v3
	v_lshrrev_b32_e32 v7, 16, v7
	v_and_or_b32 v11, 0x8000, v12, v11
	v_cndmask_b32_e64 v8, 0, 1, s0
	v_cmp_ne_u32_e64 s0, 0, v6
	v_lshl_or_b32 v12, v17, 12, v1
	v_lshl_or_b32 v4, v11, 16, v4
	v_or_b32_e32 v8, v23, v8
	v_cndmask_b32_e64 v6, 0, 1, s0
	v_cmp_gt_i32_e64 s0, 1, v17
	v_and_or_b32 v18, 0xffe, v18, v6
	v_sub_nc_u32_e32 v6, 0x3f1, v21
	v_cndmask_b32_e64 v22, v12, v8, s0
	v_mul_f64 v[11:12], v[13:14], s[4:5]
	v_add_co_u32 v8, s0, v9, s8
	v_or_b32_e32 v13, 0x1000, v18
	v_med3_i32 v6, v6, 0, 13
	v_and_b32_e32 v20, 7, v22
	v_add_co_ci_u32_e64 v9, s0, s9, v10, s0
	v_lshrrev_b32_e32 v10, v6, v13
	v_cmp_lt_i32_e64 s0, 5, v20
	v_cmp_eq_u32_e64 s1, 3, v20
	global_store_dword v[8:9], v4, off
	v_lshrrev_b32_e32 v4, 2, v22
	v_lshlrev_b32_e32 v6, v6, v10
	s_or_b32 s0, s1, s0
	v_add_co_ci_u32_e64 v4, s0, 0, v4, s0
	v_cmp_ne_u32_e64 s0, v6, v13
	v_add_nc_u32_e32 v13, 0xfffffc10, v21
	v_and_or_b32 v11, 0x1ff, v12, v11
	v_lshrrev_b32_e32 v19, 8, v12
	v_bfe_u32 v20, v12, 20, 11
	v_cndmask_b32_e64 v6, 0, 1, s0
	v_cmp_gt_i32_e64 s0, 31, v17
	v_lshrrev_b32_e32 v12, 16, v12
	v_or_b32_e32 v6, v10, v6
	v_cndmask_b32_e64 v14, 0x7c00, v4, s0
	v_cmp_ne_u32_e64 s0, 0, v11
	v_cvt_f64_f32_e32 v[3:4], v3
	v_lshl_or_b32 v10, v13, 12, v18
	v_cndmask_b32_e64 v11, 0, 1, s0
	v_cmp_ne_u32_e64 s0, 0, v1
	v_cndmask_b32_e64 v1, 0, 1, s0
	v_cmp_gt_i32_e64 s0, 1, v13
	v_lshl_or_b32 v1, v1, 9, 0x7c00
	v_cndmask_b32_e64 v6, v10, v6, s0
	v_and_or_b32 v10, 0xffe, v19, v11
	v_sub_nc_u32_e32 v11, 0x3f1, v20
	v_cmp_eq_u32_e64 s0, 0x40f, v17
	v_lshrrev_b32_e32 v19, 16, v0
	v_and_b32_e32 v21, 7, v6
	v_or_b32_e32 v22, 0x1000, v10
	v_med3_i32 v11, v11, 0, 13
	v_cndmask_b32_e64 v1, v14, v1, s0
	v_lshrrev_b32_e32 v17, 16, v5
	v_cmp_lt_i32_e64 s0, 5, v21
	v_cmp_eq_u32_e64 s1, 3, v21
	v_lshrrev_b32_e32 v5, 2, v6
	v_lshrrev_b32_e32 v14, v11, v22
	v_mul_f16_sdwa v23, v65, v19 dst_sel:DWORD dst_unused:UNUSED_PAD src0_sel:WORD_1 src1_sel:DWORD
	v_mul_f64 v[3:4], v[3:4], s[4:5]
	s_or_b32 s0, s1, s0
	v_add_nc_u32_e32 v20, 0xfffffc10, v20
	v_add_co_ci_u32_e64 v21, s0, 0, v5, s0
	v_lshlrev_b32_e32 v11, v11, v14
	v_cmp_ne_u32_e64 s0, 0, v18
	v_fmac_f16_e32 v23, v65, v0
	v_and_or_b32 v1, 0x8000, v17, v1
	v_mul_f16_sdwa v0, v65, v0 dst_sel:DWORD dst_unused:UNUSED_PAD src0_sel:WORD_1 src1_sel:DWORD
	v_cndmask_b32_e64 v18, 0, 1, s0
	v_cmp_ne_u32_e64 s0, v11, v22
	v_cvt_f32_f16_e32 v6, v23
	v_and_b32_e32 v1, 0xffff, v1
	v_fma_f16 v0, v65, v19, -v0
	v_lshl_or_b32 v18, v18, 9, 0x7c00
	v_cndmask_b32_e64 v11, 0, 1, s0
	v_cmp_gt_i32_e64 s0, 31, v13
	v_cvt_f64_f32_e32 v[5:6], v6
	v_cvt_f32_f16_e32 v0, v0
	v_lshrrev_b32_e32 v22, 16, v2
	v_or_b32_e32 v11, v14, v11
	v_cndmask_b32_e64 v21, 0x7c00, v21, s0
	v_cmp_eq_u32_e64 s0, 0x40f, v13
	v_lshl_or_b32 v14, v20, 12, v10
	v_and_or_b32 v3, 0x1ff, v4, v3
	v_cndmask_b32_e64 v13, v21, v18, s0
	v_cmp_gt_i32_e64 s0, 1, v20
	v_bfe_u32 v18, v4, 20, 11
	v_and_or_b32 v7, 0x8000, v7, v13
	v_cndmask_b32_e64 v11, v14, v11, s0
	v_cmp_ne_u32_e64 s0, 0, v3
	v_lshrrev_b32_e32 v14, 8, v4
	v_lshl_or_b32 v19, v7, 16, v1
	v_and_b32_e32 v21, 7, v11
	v_cndmask_b32_e64 v3, 0, 1, s0
	v_mul_f64 v[5:6], v[5:6], s[4:5]
	v_lshrrev_b32_e32 v11, 2, v11
	v_cmp_lt_i32_e64 s0, 5, v21
	v_and_or_b32 v3, 0xffe, v14, v3
	v_sub_nc_u32_e32 v14, 0x3f1, v18
	v_cmp_eq_u32_e64 s1, 3, v21
	v_or_b32_e32 v13, 0x1000, v3
	v_med3_i32 v14, v14, 0, 13
	s_or_b32 s0, s1, s0
	v_add_co_ci_u32_e64 v11, s0, 0, v11, s0
	v_lshrrev_b32_e32 v17, v14, v13
	v_cmp_gt_i32_e64 s0, 31, v20
	v_lshlrev_b32_e32 v1, v14, v17
	v_cndmask_b32_e64 v7, 0x7c00, v11, s0
	v_and_or_b32 v5, 0x1ff, v6, v5
	v_lshrrev_b32_e32 v14, 8, v6
	v_cmp_ne_u32_e64 s0, v1, v13
	v_cvt_f64_f32_e32 v[0:1], v0
	v_add_nc_u32_e32 v13, 0xfffffc10, v18
	v_bfe_u32 v18, v6, 20, 11
	v_cndmask_b32_e64 v11, 0, 1, s0
	v_cmp_ne_u32_e64 s0, 0, v5
	v_or_b32_e32 v11, v17, v11
	v_cndmask_b32_e64 v5, 0, 1, s0
	v_cmp_ne_u32_e64 s0, 0, v10
	v_lshl_or_b32 v17, v13, 12, v3
	v_and_or_b32 v5, 0xffe, v14, v5
	v_cndmask_b32_e64 v10, 0, 1, s0
	v_sub_nc_u32_e32 v14, 0x3f1, v18
	v_cmp_gt_i32_e64 s0, 1, v13
	v_lshl_or_b32 v10, v10, 9, 0x7c00
	v_med3_i32 v14, v14, 0, 13
	v_cndmask_b32_e64 v11, v17, v11, s0
	v_or_b32_e32 v17, 0x1000, v5
	v_cmp_eq_u32_e64 s0, 0x40f, v20
	v_mul_f64 v[0:1], v[0:1], s[4:5]
	v_and_b32_e32 v20, 7, v11
	v_lshrrev_b32_e32 v21, v14, v17
	v_cndmask_b32_e64 v10, v7, v10, s0
	v_add_co_u32 v7, s0, v8, s6
	v_add_co_ci_u32_e64 v8, s0, s7, v9, s0
	v_and_or_b32 v12, 0x8000, v12, v10
	v_lshlrev_b32_e32 v10, v14, v21
	v_mul_f16_sdwa v9, v64, v22 dst_sel:DWORD dst_unused:UNUSED_PAD src0_sel:WORD_1 src1_sel:DWORD
	v_cmp_lt_i32_e64 s0, 5, v20
	v_cmp_eq_u32_e64 s1, 3, v20
	v_lshrrev_b32_e32 v11, 2, v11
	v_cmp_ne_u32_e64 s2, v10, v17
	v_fmac_f16_e32 v9, v64, v2
	v_add_nc_u32_e32 v14, 0xfffffc10, v18
	s_or_b32 s0, s1, s0
	v_and_b32_e32 v12, 0xffff, v12
	v_add_co_ci_u32_e64 v11, s0, 0, v11, s0
	v_cndmask_b32_e64 v10, 0, 1, s2
	v_cmp_ne_u32_e64 s0, 0, v3
	v_cvt_f32_f16_e32 v9, v9
	v_lshl_or_b32 v18, v14, 12, v5
	v_and_or_b32 v0, 0x1ff, v1, v0
	v_or_b32_e32 v17, v21, v10
	v_cndmask_b32_e64 v3, 0, 1, s0
	v_cmp_gt_i32_e64 s0, 1, v14
	v_cvt_f64_f32_e32 v[9:10], v9
	v_bfe_u32 v20, v1, 20, 11
	v_mul_f16_sdwa v2, v64, v2 dst_sel:DWORD dst_unused:UNUSED_PAD src0_sel:WORD_1 src1_sel:DWORD
	v_lshl_or_b32 v3, v3, 9, 0x7c00
	v_cndmask_b32_e64 v17, v18, v17, s0
	v_cmp_ne_u32_e64 s0, 0, v0
	v_lshrrev_b32_e32 v18, 8, v1
	v_fma_f16 v2, v64, v22, -v2
	v_and_b32_e32 v21, 7, v17
	v_cndmask_b32_e64 v0, 0, 1, s0
	v_cmp_gt_i32_e64 s0, 31, v13
	v_cvt_f32_f16_e32 v2, v2
	v_cmp_eq_u32_e64 s1, 3, v21
	v_and_or_b32 v0, 0xffe, v18, v0
	v_cndmask_b32_e64 v11, 0x7c00, v11, s0
	v_cmp_eq_u32_e64 s0, 0x40f, v13
	v_lshrrev_b32_e32 v18, 16, v4
	v_sub_nc_u32_e32 v13, 0x3f1, v20
	v_or_b32_e32 v23, 0x1000, v0
	v_cndmask_b32_e64 v11, v11, v3, s0
	v_cmp_lt_i32_e64 s0, 5, v21
	v_mul_f64 v[3:4], v[9:10], s[4:5]
	v_med3_i32 v9, v13, 0, 13
	v_and_or_b32 v10, 0x8000, v18, v11
	v_lshrrev_b32_e32 v11, 2, v17
	s_or_b32 s0, s1, s0
	v_lshrrev_b32_e32 v13, v9, v23
	v_add_nc_u32_e32 v17, 0xfffffc10, v20
	v_lshl_or_b32 v12, v10, 16, v12
	v_add_co_ci_u32_e64 v11, s0, 0, v11, s0
	v_cmp_ne_u32_e64 s0, 0, v5
	v_lshlrev_b32_e32 v9, v9, v13
	v_lshrrev_b32_e32 v20, 16, v6
	v_cndmask_b32_e64 v5, 0, 1, s0
	v_cmp_gt_i32_e64 s0, 31, v14
	v_lshl_or_b32 v5, v5, 9, 0x7c00
	v_cndmask_b32_e64 v10, 0x7c00, v11, s0
	v_cmp_ne_u32_e64 s0, v9, v23
	ds_read_b32 v11, v62 offset:1584
	v_and_or_b32 v3, 0x1ff, v4, v3
	v_bfe_u32 v18, v4, 20, 11
	v_cndmask_b32_e64 v9, 0, 1, s0
	v_cmp_eq_u32_e64 s0, 0x40f, v14
	v_lshrrev_b32_e32 v14, 8, v4
	v_lshrrev_b32_e32 v4, 16, v4
	v_cndmask_b32_e64 v10, v10, v5, s0
	v_cmp_ne_u32_e64 s0, 0, v3
	v_or_b32_e32 v5, v13, v9
	v_lshl_or_b32 v9, v17, 12, v0
	v_cvt_f64_f32_e32 v[2:3], v2
	v_and_or_b32 v20, 0x8000, v20, v10
	v_cndmask_b32_e64 v13, 0, 1, s0
	v_cmp_gt_i32_e64 s0, 1, v17
	v_and_or_b32 v13, 0xffe, v14, v13
	v_cndmask_b32_e64 v9, v9, v5, s0
	v_sub_nc_u32_e32 v5, 0x3f1, v18
	s_waitcnt lgkmcnt(0)
	v_lshrrev_b32_e32 v14, 16, v11
	v_add_nc_u32_e32 v18, 0xfffffc10, v18
	v_or_b32_e32 v22, 0x1000, v13
	v_and_b32_e32 v21, 7, v9
	v_med3_i32 v23, v5, 0, 13
	v_mul_f16_sdwa v24, v63, v14 dst_sel:DWORD dst_unused:UNUSED_PAD src0_sel:WORD_1 src1_sel:DWORD
	v_add_co_u32 v5, s0, v7, s6
	v_add_co_ci_u32_e64 v6, s0, s7, v8, s0
	v_lshrrev_b32_e32 v25, v23, v22
	v_fmac_f16_e32 v24, v63, v11
	v_cmp_lt_i32_e64 s0, 5, v21
	v_cmp_eq_u32_e64 s1, 3, v21
	v_lshrrev_b32_e32 v9, 2, v9
	v_lshlrev_b32_e32 v21, v23, v25
	v_cvt_f32_f16_e32 v10, v24
	v_mul_f64 v[2:3], v[2:3], s[4:5]
	s_or_b32 s0, s1, s0
	v_mul_f16_sdwa v11, v63, v11 dst_sel:DWORD dst_unused:UNUSED_PAD src0_sel:WORD_1 src1_sel:DWORD
	v_add_co_ci_u32_e64 v23, s0, 0, v9, s0
	v_cmp_ne_u32_e64 s0, v21, v22
	v_cvt_f64_f32_e32 v[9:10], v10
	v_lshl_or_b32 v22, v18, 12, v13
	v_fma_f16 v11, v63, v14, -v11
	v_cndmask_b32_e64 v21, 0, 1, s0
	v_cmp_ne_u32_e64 s0, 0, v0
	v_cvt_f32_f16_e32 v11, v11
	v_or_b32_e32 v21, v25, v21
	v_cndmask_b32_e64 v0, 0, 1, s0
	v_cmp_gt_i32_e64 s0, 31, v17
	v_lshl_or_b32 v0, v0, 9, 0x7c00
	v_cndmask_b32_e64 v14, 0x7c00, v23, s0
	v_cmp_gt_i32_e64 s0, 1, v18
	v_and_or_b32 v2, 0x1ff, v3, v2
	v_bfe_u32 v23, v3, 20, 11
	v_cndmask_b32_e64 v21, v22, v21, s0
	v_cmp_eq_u32_e64 s0, 0x40f, v17
	v_mul_f64 v[9:10], v[9:10], s[4:5]
	v_lshrrev_b32_e32 v17, 16, v1
	v_lshrrev_b32_e32 v22, 8, v3
	;; [unrolled: 1-line block ×3, first 2 shown]
	v_cndmask_b32_e64 v14, v14, v0, s0
	v_cvt_f64_f32_e32 v[0:1], v11
	v_cmp_ne_u32_e64 s0, 0, v2
	v_and_b32_e32 v11, 7, v21
	v_and_or_b32 v14, 0x8000, v17, v14
	v_and_b32_e32 v17, 0xffff, v20
	v_cndmask_b32_e64 v2, 0, 1, s0
	v_cmp_lt_i32_e64 s0, 5, v11
	v_cmp_eq_u32_e64 s1, 3, v11
	v_sub_nc_u32_e32 v20, 0x3f1, v23
	v_lshl_or_b32 v11, v14, 16, v17
	v_lshrrev_b32_e32 v14, 2, v21
	v_and_or_b32 v2, 0xffe, v22, v2
	s_or_b32 s0, s1, s0
	v_med3_i32 v20, v20, 0, 13
	v_add_co_ci_u32_e64 v14, s0, 0, v14, s0
	v_or_b32_e32 v17, 0x1000, v2
	v_cmp_ne_u32_e64 s0, 0, v13
	v_and_or_b32 v9, 0x1ff, v10, v9
	v_lshrrev_b32_e32 v22, 8, v10
	v_mul_f64 v[0:1], v[0:1], s[4:5]
	v_lshrrev_b32_e32 v21, v20, v17
	v_cndmask_b32_e64 v13, 0, 1, s0
	v_cmp_gt_i32_e64 s0, 31, v18
	v_bfe_u32 v24, v10, 20, 11
	v_lshrrev_b32_e32 v10, 16, v10
	v_lshlrev_b32_e32 v20, v20, v21
	v_lshl_or_b32 v13, v13, 9, 0x7c00
	v_cndmask_b32_e64 v14, 0x7c00, v14, s0
	v_cmp_ne_u32_e64 s0, 0, v9
	v_cndmask_b32_e64 v9, 0, 1, s0
	v_cmp_ne_u32_e64 s0, v20, v17
	v_add_nc_u32_e32 v20, 0xfffffc10, v23
	v_and_or_b32 v9, 0xffe, v22, v9
	v_cndmask_b32_e64 v17, 0, 1, s0
	v_sub_nc_u32_e32 v22, 0x3f1, v24
	v_cmp_eq_u32_e64 s0, 0x40f, v18
	v_and_or_b32 v0, 0x1ff, v1, v0
	v_or_b32_e32 v18, 0x1000, v9
	v_bfe_u32 v23, v1, 20, 11
	v_cndmask_b32_e64 v13, v14, v13, s0
	v_or_b32_e32 v14, v21, v17
	v_lshl_or_b32 v17, v20, 12, v2
	v_med3_i32 v21, v22, 0, 13
	v_cmp_gt_i32_e64 s0, 1, v20
	v_lshrrev_b32_e32 v22, 8, v1
	v_and_or_b32 v4, 0x8000, v4, v13
	v_sub_nc_u32_e32 v13, 0x3f1, v23
	v_lshrrev_b32_e32 v1, 16, v1
	v_cndmask_b32_e64 v14, v17, v14, s0
	v_lshrrev_b32_e32 v17, v21, v18
	v_cmp_ne_u32_e64 s0, 0, v0
	v_med3_i32 v13, v13, 0, 13
	v_and_b32_e32 v4, 0xffff, v4
	v_and_b32_e32 v25, 7, v14
	v_lshlrev_b32_e32 v21, v21, v17
	v_cndmask_b32_e64 v0, 0, 1, s0
	v_lshrrev_b32_e32 v14, 2, v14
	v_cmp_lt_i32_e64 s0, 5, v25
	v_cmp_ne_u32_e64 s1, v21, v18
	v_and_or_b32 v0, 0xffe, v22, v0
	v_add_nc_u32_e32 v22, 0xfffffc10, v24
	v_cndmask_b32_e64 v18, 0, 1, s1
	v_cmp_eq_u32_e64 s1, 3, v25
	v_or_b32_e32 v21, 0x1000, v0
	v_lshl_or_b32 v24, v22, 12, v9
	v_or_b32_e32 v17, v17, v18
	s_or_b32 s0, s1, s0
	v_lshrrev_b32_e32 v18, v13, v21
	v_add_co_ci_u32_e64 v14, s0, 0, v14, s0
	v_cmp_gt_i32_e64 s0, 1, v22
	v_lshlrev_b32_e32 v13, v13, v18
	v_cndmask_b32_e64 v17, v24, v17, s0
	v_cmp_ne_u32_e64 s0, 0, v2
	v_cndmask_b32_e64 v2, 0, 1, s0
	v_cmp_ne_u32_e64 s0, v13, v21
	v_add_nc_u32_e32 v21, 0xfffffc10, v23
	v_and_b32_e32 v23, 7, v17
	v_lshl_or_b32 v2, v2, 9, 0x7c00
	v_cndmask_b32_e64 v13, 0, 1, s0
	v_cmp_gt_i32_e64 s0, 31, v20
	v_cmp_gt_i32_e64 s2, 1, v21
	v_cmp_eq_u32_e64 s1, 3, v23
	v_or_b32_e32 v13, v18, v13
	v_lshl_or_b32 v18, v21, 12, v0
	v_cndmask_b32_e64 v14, 0x7c00, v14, s0
	v_cmp_lt_i32_e64 s0, 5, v23
	v_cndmask_b32_e64 v13, v18, v13, s2
	v_cmp_eq_u32_e64 s2, 0x40f, v20
	s_or_b32 s0, s1, s0
	v_cndmask_b32_e64 v2, v14, v2, s2
	v_lshrrev_b32_e32 v14, 2, v17
	v_and_b32_e32 v17, 7, v13
	v_lshrrev_b32_e32 v13, 2, v13
	v_cmp_gt_i32_e64 s2, 31, v22
	v_add_co_ci_u32_e64 v14, s0, 0, v14, s0
	v_cmp_ne_u32_e64 s0, 0, v9
	v_cmp_eq_u32_e64 s1, 3, v17
	v_cndmask_b32_e64 v14, 0x7c00, v14, s2
	v_cndmask_b32_e64 v9, 0, 1, s0
	v_cmp_lt_i32_e64 s0, 5, v17
	v_lshl_or_b32 v9, v9, 9, 0x7c00
	s_or_b32 s0, s1, s0
	v_add_co_ci_u32_e64 v13, s0, 0, v13, s0
	v_cmp_ne_u32_e64 s0, 0, v0
	v_cndmask_b32_e64 v0, 0, 1, s0
	v_cmp_eq_u32_e64 s0, 0x40f, v22
	v_lshl_or_b32 v0, v0, 9, 0x7c00
	v_cndmask_b32_e64 v9, v14, v9, s0
	v_cmp_gt_i32_e64 s0, 31, v21
	v_and_or_b32 v14, 0x8000, v3, v2
	v_and_or_b32 v9, 0x8000, v10, v9
	v_cndmask_b32_e64 v13, 0x7c00, v13, s0
	v_cmp_eq_u32_e64 s0, 0x40f, v21
	v_lshl_or_b32 v4, v14, 16, v4
	v_cndmask_b32_e64 v0, v13, v0, s0
	v_add_co_u32 v2, s0, v5, s8
	v_add_co_ci_u32_e64 v3, s0, s9, v6, s0
	v_and_or_b32 v0, 0x8000, v1, v0
	v_and_b32_e32 v1, 0xffff, v9
	v_add_co_u32 v9, s0, v2, s6
	v_add_co_ci_u32_e64 v10, s0, s7, v3, s0
	v_lshl_or_b32 v13, v0, 16, v1
	v_add_co_u32 v0, s0, v9, s6
	v_add_co_ci_u32_e64 v1, s0, s7, v10, s0
	global_store_dword v[7:8], v19, off
	global_store_dword v[5:6], v12, off
	;; [unrolled: 1-line block ×5, first 2 shown]
	s_and_b32 exec_lo, exec_lo, vcc_lo
	s_cbranch_execz .LBB0_31
; %bb.30:
	global_load_dword v4, v[15:16], off offset:540
	v_add_nc_u32_e32 v2, 0x200, v62
	ds_read2_b32 v[2:3], v2 offset0:7 offset1:151
	s_waitcnt lgkmcnt(0)
	v_lshrrev_b32_e32 v5, 16, v2
	s_waitcnt vmcnt(0)
	v_mul_f16_sdwa v6, v5, v4 dst_sel:DWORD dst_unused:UNUSED_PAD src0_sel:DWORD src1_sel:WORD_1
	v_mul_f16_sdwa v7, v2, v4 dst_sel:DWORD dst_unused:UNUSED_PAD src0_sel:DWORD src1_sel:WORD_1
	v_fmac_f16_e32 v6, v2, v4
	v_fma_f16 v2, v4, v5, -v7
	v_cvt_f32_f16_e32 v4, v6
	v_cvt_f32_f16_e32 v2, v2
	v_cvt_f64_f32_e32 v[4:5], v4
	v_cvt_f64_f32_e32 v[6:7], v2
	v_mul_f64 v[4:5], v[4:5], s[4:5]
	v_mul_f64 v[6:7], v[6:7], s[4:5]
	v_and_or_b32 v2, 0x1ff, v5, v4
	v_and_or_b32 v6, 0x1ff, v7, v6
	v_lshrrev_b32_e32 v4, 8, v5
	v_bfe_u32 v8, v5, 20, 11
	v_lshrrev_b32_e32 v9, 8, v7
	v_cmp_ne_u32_e32 vcc_lo, 0, v2
	v_bfe_u32 v10, v7, 20, 11
	v_lshrrev_b32_e32 v5, 16, v5
	v_sub_nc_u32_e32 v11, 0x3f1, v8
	v_add_nc_u32_e32 v8, 0xfffffc10, v8
	v_cndmask_b32_e64 v2, 0, 1, vcc_lo
	v_cmp_ne_u32_e32 vcc_lo, 0, v6
	v_lshrrev_b32_e32 v7, 16, v7
	v_and_or_b32 v2, 0xffe, v4, v2
	v_cndmask_b32_e64 v6, 0, 1, vcc_lo
	v_sub_nc_u32_e32 v4, 0x3f1, v10
	v_add_nc_u32_e32 v10, 0xfffffc10, v10
	v_and_or_b32 v6, 0xffe, v9, v6
	v_med3_i32 v9, v11, 0, 13
	v_or_b32_e32 v11, 0x1000, v2
	v_med3_i32 v4, v4, 0, 13
	v_or_b32_e32 v12, 0x1000, v6
	v_lshrrev_b32_e32 v13, v9, v11
	v_lshrrev_b32_e32 v14, v4, v12
	v_lshlrev_b32_e32 v9, v9, v13
	v_lshlrev_b32_e32 v4, v4, v14
	v_cmp_ne_u32_e32 vcc_lo, v9, v11
	v_lshl_or_b32 v11, v8, 12, v2
	v_cndmask_b32_e64 v9, 0, 1, vcc_lo
	v_cmp_ne_u32_e32 vcc_lo, v4, v12
	v_lshl_or_b32 v12, v10, 12, v6
	v_or_b32_e32 v9, v13, v9
	v_cndmask_b32_e64 v4, 0, 1, vcc_lo
	v_cmp_gt_i32_e32 vcc_lo, 1, v8
	v_or_b32_e32 v4, v14, v4
	v_cndmask_b32_e32 v9, v11, v9, vcc_lo
	v_cmp_gt_i32_e32 vcc_lo, 1, v10
	v_and_b32_e32 v11, 7, v9
	v_cndmask_b32_e32 v4, v12, v4, vcc_lo
	v_cmp_ne_u32_e32 vcc_lo, 0, v2
	v_lshrrev_b32_e32 v9, 2, v9
	v_cmp_eq_u32_e64 s0, 3, v11
	v_and_b32_e32 v12, 7, v4
	v_cndmask_b32_e64 v2, 0, 1, vcc_lo
	v_cmp_ne_u32_e32 vcc_lo, 0, v6
	v_lshrrev_b32_e32 v4, 2, v4
	v_cmp_lt_i32_e64 s1, 5, v12
	v_cmp_eq_u32_e64 s2, 3, v12
	v_cndmask_b32_e64 v6, 0, 1, vcc_lo
	v_cmp_lt_i32_e32 vcc_lo, 5, v11
	v_lshl_or_b32 v2, v2, 9, 0x7c00
	v_lshl_or_b32 v6, v6, 9, 0x7c00
	s_or_b32 vcc_lo, s0, vcc_lo
	v_add_co_ci_u32_e32 v9, vcc_lo, 0, v9, vcc_lo
	s_or_b32 vcc_lo, s2, s1
	v_add_co_ci_u32_e32 v4, vcc_lo, 0, v4, vcc_lo
	v_cmp_gt_i32_e32 vcc_lo, 31, v8
	v_cndmask_b32_e32 v9, 0x7c00, v9, vcc_lo
	v_cmp_gt_i32_e32 vcc_lo, 31, v10
	v_cndmask_b32_e32 v4, 0x7c00, v4, vcc_lo
	v_cmp_eq_u32_e32 vcc_lo, 0x40f, v8
	v_cndmask_b32_e32 v2, v9, v2, vcc_lo
	v_cmp_eq_u32_e32 vcc_lo, 0x40f, v10
	v_and_or_b32 v2, 0x8000, v5, v2
	v_cndmask_b32_e32 v4, v4, v6, vcc_lo
	v_add_co_u32 v0, vcc_lo, v0, s8
	v_add_co_ci_u32_e32 v1, vcc_lo, s9, v1, vcc_lo
	v_and_or_b32 v4, 0x8000, v7, v4
	v_and_b32_e32 v2, 0xffff, v2
	v_lshl_or_b32 v2, v4, 16, v2
	v_lshrrev_b32_e32 v4, 16, v3
	global_store_dword v[0:1], v2, off
	global_load_dword v2, v[15:16], off offset:1116
	s_waitcnt vmcnt(0)
	v_mul_f16_sdwa v5, v4, v2 dst_sel:DWORD dst_unused:UNUSED_PAD src0_sel:DWORD src1_sel:WORD_1
	v_mul_f16_sdwa v6, v3, v2 dst_sel:DWORD dst_unused:UNUSED_PAD src0_sel:DWORD src1_sel:WORD_1
	v_fmac_f16_e32 v5, v3, v2
	v_fma_f16 v2, v2, v4, -v6
	v_cvt_f32_f16_e32 v3, v5
	v_cvt_f32_f16_e32 v4, v2
	v_cvt_f64_f32_e32 v[2:3], v3
	v_cvt_f64_f32_e32 v[4:5], v4
	v_mul_f64 v[2:3], v[2:3], s[4:5]
	v_mul_f64 v[4:5], v[4:5], s[4:5]
	v_and_or_b32 v2, 0x1ff, v3, v2
	v_and_or_b32 v4, 0x1ff, v5, v4
	v_lshrrev_b32_e32 v6, 8, v3
	v_bfe_u32 v7, v3, 20, 11
	v_lshrrev_b32_e32 v8, 8, v5
	v_cmp_ne_u32_e32 vcc_lo, 0, v2
	v_bfe_u32 v9, v5, 20, 11
	v_lshrrev_b32_e32 v3, 16, v3
	v_sub_nc_u32_e32 v10, 0x3f1, v7
	v_add_nc_u32_e32 v7, 0xfffffc10, v7
	v_cndmask_b32_e64 v2, 0, 1, vcc_lo
	v_cmp_ne_u32_e32 vcc_lo, 0, v4
	v_lshrrev_b32_e32 v5, 16, v5
	v_and_or_b32 v2, 0xffe, v6, v2
	v_cndmask_b32_e64 v4, 0, 1, vcc_lo
	v_sub_nc_u32_e32 v6, 0x3f1, v9
	v_add_nc_u32_e32 v9, 0xfffffc10, v9
	v_and_or_b32 v4, 0xffe, v8, v4
	v_med3_i32 v8, v10, 0, 13
	v_or_b32_e32 v10, 0x1000, v2
	v_med3_i32 v6, v6, 0, 13
	v_or_b32_e32 v11, 0x1000, v4
	v_lshrrev_b32_e32 v12, v8, v10
	v_lshrrev_b32_e32 v13, v6, v11
	v_lshlrev_b32_e32 v8, v8, v12
	v_lshlrev_b32_e32 v6, v6, v13
	v_cmp_ne_u32_e32 vcc_lo, v8, v10
	v_lshl_or_b32 v10, v7, 12, v2
	v_cndmask_b32_e64 v8, 0, 1, vcc_lo
	v_cmp_ne_u32_e32 vcc_lo, v6, v11
	v_lshl_or_b32 v11, v9, 12, v4
	v_or_b32_e32 v8, v12, v8
	v_cndmask_b32_e64 v6, 0, 1, vcc_lo
	v_cmp_gt_i32_e32 vcc_lo, 1, v7
	v_or_b32_e32 v6, v13, v6
	v_cndmask_b32_e32 v8, v10, v8, vcc_lo
	v_cmp_gt_i32_e32 vcc_lo, 1, v9
	v_and_b32_e32 v10, 7, v8
	v_cndmask_b32_e32 v6, v11, v6, vcc_lo
	v_cmp_ne_u32_e32 vcc_lo, 0, v2
	v_lshrrev_b32_e32 v8, 2, v8
	v_cmp_eq_u32_e64 s0, 3, v10
	v_and_b32_e32 v11, 7, v6
	v_cndmask_b32_e64 v2, 0, 1, vcc_lo
	v_cmp_ne_u32_e32 vcc_lo, 0, v4
	v_lshrrev_b32_e32 v6, 2, v6
	v_cmp_lt_i32_e64 s1, 5, v11
	v_cmp_eq_u32_e64 s2, 3, v11
	v_cndmask_b32_e64 v4, 0, 1, vcc_lo
	v_cmp_lt_i32_e32 vcc_lo, 5, v10
	v_lshl_or_b32 v2, v2, 9, 0x7c00
	v_lshl_or_b32 v4, v4, 9, 0x7c00
	s_or_b32 vcc_lo, s0, vcc_lo
	v_add_co_ci_u32_e32 v8, vcc_lo, 0, v8, vcc_lo
	s_or_b32 vcc_lo, s2, s1
	v_add_co_ci_u32_e32 v6, vcc_lo, 0, v6, vcc_lo
	v_cmp_gt_i32_e32 vcc_lo, 31, v7
	v_cndmask_b32_e32 v8, 0x7c00, v8, vcc_lo
	v_cmp_gt_i32_e32 vcc_lo, 31, v9
	v_cndmask_b32_e32 v6, 0x7c00, v6, vcc_lo
	v_cmp_eq_u32_e32 vcc_lo, 0x40f, v7
	v_cndmask_b32_e32 v2, v8, v2, vcc_lo
	v_cmp_eq_u32_e32 vcc_lo, 0x40f, v9
	v_and_or_b32 v2, 0x8000, v3, v2
	v_cndmask_b32_e32 v4, v6, v4, vcc_lo
	v_add_co_u32 v0, vcc_lo, v0, s6
	v_add_co_ci_u32_e32 v1, vcc_lo, s7, v1, vcc_lo
	v_and_or_b32 v3, 0x8000, v5, v4
	v_and_b32_e32 v2, 0xffff, v2
	v_lshl_or_b32 v2, v3, 16, v2
	ds_read_b32 v3, v62 offset:1692
	global_store_dword v[0:1], v2, off
	global_load_dword v2, v[15:16], off offset:1692
	s_waitcnt lgkmcnt(0)
	v_lshrrev_b32_e32 v4, 16, v3
	s_waitcnt vmcnt(0)
	v_mul_f16_sdwa v5, v4, v2 dst_sel:DWORD dst_unused:UNUSED_PAD src0_sel:DWORD src1_sel:WORD_1
	v_mul_f16_sdwa v6, v3, v2 dst_sel:DWORD dst_unused:UNUSED_PAD src0_sel:DWORD src1_sel:WORD_1
	v_fmac_f16_e32 v5, v3, v2
	v_fma_f16 v2, v2, v4, -v6
	v_cvt_f32_f16_e32 v3, v5
	v_cvt_f32_f16_e32 v4, v2
	v_cvt_f64_f32_e32 v[2:3], v3
	v_cvt_f64_f32_e32 v[4:5], v4
	v_mul_f64 v[2:3], v[2:3], s[4:5]
	v_mul_f64 v[4:5], v[4:5], s[4:5]
	v_and_or_b32 v2, 0x1ff, v3, v2
	v_and_or_b32 v4, 0x1ff, v5, v4
	v_lshrrev_b32_e32 v6, 8, v3
	v_bfe_u32 v7, v3, 20, 11
	v_lshrrev_b32_e32 v8, 8, v5
	v_cmp_ne_u32_e32 vcc_lo, 0, v2
	v_bfe_u32 v9, v5, 20, 11
	v_lshrrev_b32_e32 v3, 16, v3
	v_sub_nc_u32_e32 v10, 0x3f1, v7
	v_add_nc_u32_e32 v7, 0xfffffc10, v7
	v_cndmask_b32_e64 v2, 0, 1, vcc_lo
	v_cmp_ne_u32_e32 vcc_lo, 0, v4
	v_lshrrev_b32_e32 v5, 16, v5
	v_and_or_b32 v2, 0xffe, v6, v2
	v_cndmask_b32_e64 v4, 0, 1, vcc_lo
	v_sub_nc_u32_e32 v6, 0x3f1, v9
	v_add_nc_u32_e32 v9, 0xfffffc10, v9
	v_and_or_b32 v4, 0xffe, v8, v4
	v_med3_i32 v8, v10, 0, 13
	v_or_b32_e32 v10, 0x1000, v2
	v_med3_i32 v6, v6, 0, 13
	v_or_b32_e32 v11, 0x1000, v4
	v_lshrrev_b32_e32 v12, v8, v10
	v_lshrrev_b32_e32 v13, v6, v11
	v_lshlrev_b32_e32 v8, v8, v12
	v_lshlrev_b32_e32 v6, v6, v13
	v_cmp_ne_u32_e32 vcc_lo, v8, v10
	v_lshl_or_b32 v10, v7, 12, v2
	v_cndmask_b32_e64 v8, 0, 1, vcc_lo
	v_cmp_ne_u32_e32 vcc_lo, v6, v11
	v_lshl_or_b32 v11, v9, 12, v4
	v_or_b32_e32 v8, v12, v8
	v_cndmask_b32_e64 v6, 0, 1, vcc_lo
	v_cmp_gt_i32_e32 vcc_lo, 1, v7
	v_or_b32_e32 v6, v13, v6
	v_cndmask_b32_e32 v8, v10, v8, vcc_lo
	v_cmp_gt_i32_e32 vcc_lo, 1, v9
	v_and_b32_e32 v10, 7, v8
	v_cndmask_b32_e32 v6, v11, v6, vcc_lo
	v_cmp_ne_u32_e32 vcc_lo, 0, v2
	v_lshrrev_b32_e32 v8, 2, v8
	v_cmp_eq_u32_e64 s0, 3, v10
	v_and_b32_e32 v11, 7, v6
	v_cndmask_b32_e64 v2, 0, 1, vcc_lo
	v_cmp_ne_u32_e32 vcc_lo, 0, v4
	v_lshrrev_b32_e32 v6, 2, v6
	v_cmp_lt_i32_e64 s1, 5, v11
	v_cmp_eq_u32_e64 s2, 3, v11
	v_cndmask_b32_e64 v4, 0, 1, vcc_lo
	v_cmp_lt_i32_e32 vcc_lo, 5, v10
	v_lshl_or_b32 v2, v2, 9, 0x7c00
	v_lshl_or_b32 v4, v4, 9, 0x7c00
	s_or_b32 vcc_lo, s0, vcc_lo
	v_add_co_ci_u32_e32 v8, vcc_lo, 0, v8, vcc_lo
	s_or_b32 vcc_lo, s2, s1
	v_add_co_ci_u32_e32 v6, vcc_lo, 0, v6, vcc_lo
	v_cmp_gt_i32_e32 vcc_lo, 31, v7
	v_cndmask_b32_e32 v8, 0x7c00, v8, vcc_lo
	v_cmp_gt_i32_e32 vcc_lo, 31, v9
	v_cndmask_b32_e32 v6, 0x7c00, v6, vcc_lo
	v_cmp_eq_u32_e32 vcc_lo, 0x40f, v7
	v_cndmask_b32_e32 v2, v8, v2, vcc_lo
	v_cmp_eq_u32_e32 vcc_lo, 0x40f, v9
	v_and_or_b32 v2, 0x8000, v3, v2
	v_cndmask_b32_e32 v4, v6, v4, vcc_lo
	v_add_co_u32 v0, vcc_lo, v0, s6
	v_add_co_ci_u32_e32 v1, vcc_lo, s7, v1, vcc_lo
	v_and_or_b32 v3, 0x8000, v5, v4
	v_and_b32_e32 v2, 0xffff, v2
	v_lshl_or_b32 v2, v3, 16, v2
	global_store_dword v[0:1], v2, off
.LBB0_31:
	s_endpgm
	.section	.rodata,"a",@progbits
	.p2align	6, 0x0
	.amdhsa_kernel bluestein_single_fwd_len432_dim1_half_op_CI_CI
		.amdhsa_group_segment_fixed_size 3456
		.amdhsa_private_segment_fixed_size 0
		.amdhsa_kernarg_size 104
		.amdhsa_user_sgpr_count 6
		.amdhsa_user_sgpr_private_segment_buffer 1
		.amdhsa_user_sgpr_dispatch_ptr 0
		.amdhsa_user_sgpr_queue_ptr 0
		.amdhsa_user_sgpr_kernarg_segment_ptr 1
		.amdhsa_user_sgpr_dispatch_id 0
		.amdhsa_user_sgpr_flat_scratch_init 0
		.amdhsa_user_sgpr_private_segment_size 0
		.amdhsa_wavefront_size32 1
		.amdhsa_uses_dynamic_stack 0
		.amdhsa_system_sgpr_private_segment_wavefront_offset 0
		.amdhsa_system_sgpr_workgroup_id_x 1
		.amdhsa_system_sgpr_workgroup_id_y 0
		.amdhsa_system_sgpr_workgroup_id_z 0
		.amdhsa_system_sgpr_workgroup_info 0
		.amdhsa_system_vgpr_workitem_id 0
		.amdhsa_next_free_vgpr 154
		.amdhsa_next_free_sgpr 16
		.amdhsa_reserve_vcc 1
		.amdhsa_reserve_flat_scratch 0
		.amdhsa_float_round_mode_32 0
		.amdhsa_float_round_mode_16_64 0
		.amdhsa_float_denorm_mode_32 3
		.amdhsa_float_denorm_mode_16_64 3
		.amdhsa_dx10_clamp 1
		.amdhsa_ieee_mode 1
		.amdhsa_fp16_overflow 0
		.amdhsa_workgroup_processor_mode 1
		.amdhsa_memory_ordered 1
		.amdhsa_forward_progress 0
		.amdhsa_shared_vgpr_count 0
		.amdhsa_exception_fp_ieee_invalid_op 0
		.amdhsa_exception_fp_denorm_src 0
		.amdhsa_exception_fp_ieee_div_zero 0
		.amdhsa_exception_fp_ieee_overflow 0
		.amdhsa_exception_fp_ieee_underflow 0
		.amdhsa_exception_fp_ieee_inexact 0
		.amdhsa_exception_int_div_zero 0
	.end_amdhsa_kernel
	.text
.Lfunc_end0:
	.size	bluestein_single_fwd_len432_dim1_half_op_CI_CI, .Lfunc_end0-bluestein_single_fwd_len432_dim1_half_op_CI_CI
                                        ; -- End function
	.section	.AMDGPU.csdata,"",@progbits
; Kernel info:
; codeLenInByte = 25496
; NumSgprs: 18
; NumVgprs: 154
; ScratchSize: 0
; MemoryBound: 0
; FloatMode: 240
; IeeeMode: 1
; LDSByteSize: 3456 bytes/workgroup (compile time only)
; SGPRBlocks: 2
; VGPRBlocks: 19
; NumSGPRsForWavesPerEU: 18
; NumVGPRsForWavesPerEU: 154
; Occupancy: 6
; WaveLimiterHint : 1
; COMPUTE_PGM_RSRC2:SCRATCH_EN: 0
; COMPUTE_PGM_RSRC2:USER_SGPR: 6
; COMPUTE_PGM_RSRC2:TRAP_HANDLER: 0
; COMPUTE_PGM_RSRC2:TGID_X_EN: 1
; COMPUTE_PGM_RSRC2:TGID_Y_EN: 0
; COMPUTE_PGM_RSRC2:TGID_Z_EN: 0
; COMPUTE_PGM_RSRC2:TIDIG_COMP_CNT: 0
	.text
	.p2alignl 6, 3214868480
	.fill 48, 4, 3214868480
	.type	__hip_cuid_911f35db02f75c9e,@object ; @__hip_cuid_911f35db02f75c9e
	.section	.bss,"aw",@nobits
	.globl	__hip_cuid_911f35db02f75c9e
__hip_cuid_911f35db02f75c9e:
	.byte	0                               ; 0x0
	.size	__hip_cuid_911f35db02f75c9e, 1

	.ident	"AMD clang version 19.0.0git (https://github.com/RadeonOpenCompute/llvm-project roc-6.4.0 25133 c7fe45cf4b819c5991fe208aaa96edf142730f1d)"
	.section	".note.GNU-stack","",@progbits
	.addrsig
	.addrsig_sym __hip_cuid_911f35db02f75c9e
	.amdgpu_metadata
---
amdhsa.kernels:
  - .args:
      - .actual_access:  read_only
        .address_space:  global
        .offset:         0
        .size:           8
        .value_kind:     global_buffer
      - .actual_access:  read_only
        .address_space:  global
        .offset:         8
        .size:           8
        .value_kind:     global_buffer
      - .actual_access:  read_only
        .address_space:  global
        .offset:         16
        .size:           8
        .value_kind:     global_buffer
      - .actual_access:  read_only
        .address_space:  global
        .offset:         24
        .size:           8
        .value_kind:     global_buffer
      - .actual_access:  read_only
        .address_space:  global
        .offset:         32
        .size:           8
        .value_kind:     global_buffer
      - .offset:         40
        .size:           8
        .value_kind:     by_value
      - .address_space:  global
        .offset:         48
        .size:           8
        .value_kind:     global_buffer
      - .address_space:  global
        .offset:         56
        .size:           8
        .value_kind:     global_buffer
      - .address_space:  global
        .offset:         64
        .size:           8
        .value_kind:     global_buffer
      - .address_space:  global
        .offset:         72
        .size:           8
        .value_kind:     global_buffer
      - .offset:         80
        .size:           4
        .value_kind:     by_value
      - .address_space:  global
        .offset:         88
        .size:           8
        .value_kind:     global_buffer
      - .address_space:  global
        .offset:         96
        .size:           8
        .value_kind:     global_buffer
    .group_segment_fixed_size: 3456
    .kernarg_segment_align: 8
    .kernarg_segment_size: 104
    .language:       OpenCL C
    .language_version:
      - 2
      - 0
    .max_flat_workgroup_size: 54
    .name:           bluestein_single_fwd_len432_dim1_half_op_CI_CI
    .private_segment_fixed_size: 0
    .sgpr_count:     18
    .sgpr_spill_count: 0
    .symbol:         bluestein_single_fwd_len432_dim1_half_op_CI_CI.kd
    .uniform_work_group_size: 1
    .uses_dynamic_stack: false
    .vgpr_count:     154
    .vgpr_spill_count: 0
    .wavefront_size: 32
    .workgroup_processor_mode: 1
amdhsa.target:   amdgcn-amd-amdhsa--gfx1030
amdhsa.version:
  - 1
  - 2
...

	.end_amdgpu_metadata
